;; amdgpu-corpus repo=triton-lang/triton kind=triton arch=gfx1201 opt=O3 lang=triton
	.amdgcn_target "amdgcn-amd-amdhsa--gfx1201"
	.amdhsa_code_object_version 5
	.text
	.globl	_attn_bwd_preprocess            ; -- Begin function _attn_bwd_preprocess
	.p2align	8
	.type	_attn_bwd_preprocess,@function
_attn_bwd_preprocess:                   ; @_attn_bwd_preprocess
.Lfunc_begin0:
	.cfi_sections .debug_frame
	.cfi_startproc
; %bb.0:
	.file	1 "/root/src/amdgpu-assembly/repos/triton-lang__triton-aot" "attention_bwd.py"
	.loc	1 21 45 prologue_end            ; attention_bwd.py:21:45
	s_bfe_u32 s3, ttmp8, 0x50019
                                        ; implicit-def: $vgpr150 : SGPR spill to VGPR lane
	s_clause 0x1
	s_load_b128 s[4:7], s[0:1], 0x0
	s_load_b32 s2, s[0:1], 0x20
	.loc	1 13 54                         ; attention_bwd.py:13:54
	s_bfe_u32 s99, s3, 0x10001
	v_and_b32_e32 v2, 31, v0
	s_or_b32 s12, s99, 6
	s_or_b32 s8, s99, 10
	v_writelane_b32 v150, s12, 0
	s_or_b32 s15, s99, 14
	s_or_b32 s16, s99, 18
	.loc	1 13 31 is_stmt 0               ; attention_bwd.py:13:31
	s_lshl_b32 s33, ttmp9, 7
	.loc	1 13 54                         ; attention_bwd.py:13:54
	s_or_b32 s9, s99, 22
	v_writelane_b32 v150, s8, 1
	.loc	1 13 41                         ; attention_bwd.py:13:41
	s_or_b32 s13, s8, s33
	s_and_b32 s8, ttmp7, 0xffff
	.loc	1 13 54                         ; attention_bwd.py:13:54
	v_lshl_or_b32 v1, s3, 5, v2
	s_or_b32 s17, s99, 26
	v_writelane_b32 v150, s15, 2
	s_or_b32 s76, s99, 2
	s_or_b32 s10, s99, s33
	.loc	1 13 41                         ; attention_bwd.py:13:41
	s_or_b32 s48, s9, s33
	.loc	1 17 82 is_stmt 1               ; attention_bwd.py:17:82
	v_and_b32_e32 v3, 63, v1
	v_writelane_b32 v150, s16, 3
	.loc	1 17 40 is_stmt 0               ; attention_bwd.py:17:40
	s_wait_kmcnt 0x0
	s_wait_alu depctr_sa_sdst(0)
	s_mul_i32 s2, s8, s2
	.loc	1 13 54 is_stmt 1               ; attention_bwd.py:13:54
	s_or_b32 s14, s99, 30
	.loc	1 17 40                         ; attention_bwd.py:17:40
	s_wait_alu depctr_sa_sdst(0)
	s_lshl_b32 s8, s2, 6
	.loc	1 13 41                         ; attention_bwd.py:13:41
	s_or_b32 s11, s76, s33
	v_writelane_b32 v150, s9, 4
	.loc	1 17 20                         ; attention_bwd.py:17:20
	s_wait_alu depctr_sa_sdst(0)
	s_ashr_i32 s9, s8, 31
	.loc	1 13 41                         ; attention_bwd.py:13:41
	s_or_b32 s12, s12, s33
	.loc	1 17 20                         ; attention_bwd.py:17:20
	s_wait_alu depctr_sa_sdst(0)
	s_lshl_b64 s[22:23], s[8:9], 1
	.loc	1 13 41                         ; attention_bwd.py:13:41
	s_lshl_b32 s8, s10, 6
	v_writelane_b32 v150, s17, 5
	s_or_b32 s15, s15, s33
	s_or_b32 s50, s14, s33
	.loc	1 17 65                         ; attention_bwd.py:17:65
	s_wait_alu depctr_sa_sdst(0)
	s_or_b32 s18, s8, 0x100
	s_lshl_b32 s20, s12, 6
	v_writelane_b32 v150, s14, 6
	s_lshl_b32 s14, s11, 6
	s_or_b32 s24, s8, 0x200
	s_lshl_b32 s26, s13, 6
	s_or_b32 s42, s8, 0x300
	s_lshl_b32 s44, s15, 6
	.loc	1 17 48 is_stmt 0               ; attention_bwd.py:17:48
	s_ashr_i32 s9, s8, 31
	s_wait_alu depctr_sa_sdst(0)
	s_ashr_i32 s15, s14, 31
	s_ashr_i32 s19, s18, 31
	;; [unrolled: 1-line block ×3, first 2 shown]
	.loc	1 17 76                         ; attention_bwd.py:17:76
	v_lshlrev_b32_e32 v29, 1, v3
	.loc	1 17 20                         ; attention_bwd.py:17:20
	s_add_nc_u64 s[4:5], s[4:5], s[22:23]
	.loc	1 17 48                         ; attention_bwd.py:17:48
	s_lshl_b64 s[38:39], s[8:9], 1
	s_ashr_i32 s25, s24, 31
	s_ashr_i32 s27, s26, 31
	;; [unrolled: 1-line block ×4, first 2 shown]
	.loc	1 18 22 is_stmt 1               ; attention_bwd.py:18:22
	s_add_nc_u64 s[6:7], s[6:7], s[22:23]
	.loc	1 13 41                         ; attention_bwd.py:13:41
	s_or_b32 s16, s16, s33
	.loc	1 17 48                         ; attention_bwd.py:17:48
	s_wait_alu depctr_sa_sdst(0)
	s_lshl_b64 s[40:41], s[14:15], 1
	s_lshl_b64 s[28:29], s[18:19], 1
	;; [unrolled: 1-line block ×3, first 2 shown]
	s_add_nc_u64 s[14:15], s[4:5], s[38:39]
	s_lshl_b64 s[34:35], s[24:25], 1
	s_lshl_b64 s[36:37], s[26:27], 1
	;; [unrolled: 1-line block ×4, first 2 shown]
	.loc	1 18 50                         ; attention_bwd.py:18:50
	s_add_nc_u64 s[22:23], s[6:7], s[38:39]
	.loc	1 13 41                         ; attention_bwd.py:13:41
	s_or_b32 s49, s17, s33
	.loc	1 17 65                         ; attention_bwd.py:17:65
	s_lshl_b32 s10, s16, 6
	.loc	1 17 48 is_stmt 0               ; attention_bwd.py:17:48
	s_add_nc_u64 s[16:17], s[4:5], s[40:41]
	s_add_nc_u64 s[18:19], s[4:5], s[28:29]
	;; [unrolled: 1-line block ×3, first 2 shown]
	.loc	1 18 50 is_stmt 1               ; attention_bwd.py:18:50
	s_add_nc_u64 s[38:39], s[6:7], s[40:41]
	s_add_nc_u64 s[28:29], s[6:7], s[28:29]
	;; [unrolled: 1-line block ×3, first 2 shown]
	.loc	1 17 48                         ; attention_bwd.py:17:48
	s_add_nc_u64 s[24:25], s[4:5], s[34:35]
	s_add_nc_u64 s[26:27], s[4:5], s[36:37]
	.loc	1 18 50                         ; attention_bwd.py:18:50
	s_add_nc_u64 s[34:35], s[6:7], s[34:35]
	s_add_nc_u64 s[36:37], s[6:7], s[36:37]
	;; [unrolled: 1-line block ×4, first 2 shown]
	.loc	1 18 17 is_stmt 0               ; attention_bwd.py:18:17
	s_clause 0x7
	global_load_u16 v42, v29, s[22:23]
	global_load_u16 v40, v29, s[38:39]
	;; [unrolled: 1-line block ×8, first 2 shown]
	.loc	1 17 48 is_stmt 1               ; attention_bwd.py:17:48
	s_add_nc_u64 s[28:29], s[4:5], s[46:47]
	s_add_nc_u64 s[30:31], s[4:5], s[42:43]
	.loc	1 17 16 is_stmt 0               ; attention_bwd.py:17:16
	s_clause 0x7
	global_load_u16 v45, v29, s[14:15]
	global_load_u16 v44, v29, s[16:17]
	;; [unrolled: 1-line block ×8, first 2 shown]
	.loc	1 13 54 is_stmt 1               ; attention_bwd.py:13:54
	s_or_b32 s51, s99, 34
	.loc	1 17 65                         ; attention_bwd.py:17:65
	s_or_b32 s12, s8, 0x400
	.loc	1 13 41                         ; attention_bwd.py:13:41
	;; [unrolled: 2-line block ×3, first 2 shown]
	s_or_b32 s30, s8, 0x800
	.loc	1 17 48 is_stmt 0               ; attention_bwd.py:17:48
	s_wait_alu depctr_sa_sdst(0)
	s_ashr_i32 s13, s12, 31
	.loc	1 17 65                         ; attention_bwd.py:17:65
	s_or_b32 s16, s8, 0x500
	s_lshl_b32 s18, s48, 6
	s_or_b32 s20, s8, 0x600
	s_lshl_b32 s24, s49, 6
	;; [unrolled: 2-line block ×3, first 2 shown]
	s_lshl_b32 s34, s9, 6
	.loc	1 17 48                         ; attention_bwd.py:17:48
	s_ashr_i32 s11, s10, 31
	s_ashr_i32 s31, s30, 31
	s_wait_alu depctr_sa_sdst(0)
	s_lshl_b64 s[12:13], s[12:13], 1
	s_ashr_i32 s17, s16, 31
	s_ashr_i32 s19, s18, 31
	;; [unrolled: 1-line block ×7, first 2 shown]
	s_lshl_b64 s[10:11], s[10:11], 1
	s_lshl_b64 s[30:31], s[30:31], 1
	.loc	1 18 50 is_stmt 1               ; attention_bwd.py:18:50
	s_wait_alu depctr_sa_sdst(0)
	s_add_nc_u64 s[22:23], s[6:7], s[12:13]
	.loc	1 17 48                         ; attention_bwd.py:17:48
	s_lshl_b64 s[16:17], s[16:17], 1
	s_lshl_b64 s[18:19], s[18:19], 1
	;; [unrolled: 1-line block ×7, first 2 shown]
	.loc	1 18 50                         ; attention_bwd.py:18:50
	s_add_nc_u64 s[14:15], s[6:7], s[10:11]
	s_add_nc_u64 s[48:49], s[6:7], s[30:31]
	.loc	1 17 48                         ; attention_bwd.py:17:48
	s_wait_alu depctr_sa_sdst(0)
	s_add_nc_u64 s[36:37], s[4:5], s[16:17]
	s_add_nc_u64 s[38:39], s[4:5], s[18:19]
	;; [unrolled: 1-line block ×5, first 2 shown]
	.loc	1 18 50                         ; attention_bwd.py:18:50
	s_add_nc_u64 s[16:17], s[6:7], s[16:17]
	s_add_nc_u64 s[18:19], s[6:7], s[18:19]
	;; [unrolled: 1-line block ×3, first 2 shown]
	.loc	1 17 48                         ; attention_bwd.py:17:48
	s_add_nc_u64 s[46:47], s[4:5], s[28:29]
	.loc	1 18 50                         ; attention_bwd.py:18:50
	s_add_nc_u64 s[24:25], s[6:7], s[24:25]
	s_add_nc_u64 s[26:27], s[6:7], s[26:27]
	;; [unrolled: 1-line block ×3, first 2 shown]
	.loc	1 17 48                         ; attention_bwd.py:17:48
	s_add_nc_u64 s[12:13], s[4:5], s[12:13]
	s_add_nc_u64 s[10:11], s[4:5], s[10:11]
	v_writelane_b32 v150, s51, 7
	.loc	1 13 54                         ; attention_bwd.py:13:54
	s_or_b32 s98, s99, 38
	s_or_b32 s97, s99, 42
	;; [unrolled: 1-line block ×9, first 2 shown]
	.loc	1 17 65                         ; attention_bwd.py:17:65
	s_or_b32 s52, s8, 0xf00
	s_or_b32 s62, s8, 0x1100
	;; [unrolled: 1-line block ×3, first 2 shown]
	.loc	1 13 54                         ; attention_bwd.py:13:54
	s_or_b32 s104, s99, 0x4a
	.loc	1 17 48                         ; attention_bwd.py:17:48
	s_ashr_i32 s53, s52, 31
	s_ashr_i32 s63, s62, 31
	s_ashr_i32 s75, s74, 31
	.loc	1 17 65 is_stmt 0               ; attention_bwd.py:17:65
	s_or_b32 s56, s8, 0x1000
	s_or_b32 s66, s8, 0x1200
	s_or_b32 s102, s8, 0x1400
	.loc	1 17 48                         ; attention_bwd.py:17:48
	s_ashr_i32 s57, s56, 31
	s_ashr_i32 s67, s66, 31
	;; [unrolled: 1-line block ×3, first 2 shown]
	.loc	1 18 97 is_stmt 1               ; attention_bwd.py:18:97
	s_wait_loadcnt 0xf
	v_cvt_f32_f16_e64 v131, v42
	s_wait_loadcnt 0xe
	v_cvt_f32_f16_e64 v133, v40
	.loc	1 19 23                         ; attention_bwd.py:19:23
	s_wait_loadcnt 0x7
	v_cvt_f32_f16_e64 v132, v45
	s_wait_loadcnt 0x6
	v_cvt_f32_f16_e64 v134, v44
	.loc	1 18 97                         ; attention_bwd.py:18:97
	v_cvt_f32_f16_e64 v135, v34
	v_cvt_f32_f16_e64 v137, v30
	;; [unrolled: 1-line block ×3, first 2 shown]
	.loc	1 19 23                         ; attention_bwd.py:19:23
	v_mul_f32_e32 v131, v132, v131
	v_mul_f32_e32 v133, v134, v133
	.loc	1 18 97                         ; attention_bwd.py:18:97
	v_cvt_f32_f16_e64 v134, v32
	v_cvt_f32_f16_e64 v132, v35
	;; [unrolled: 1-line block ×3, first 2 shown]
.Ltmp0:
	.file	2 "/root/.local/lib/python3.13/site-packages/triton/language" "standard.py"
	.loc	2 293 36                        ; standard.py:293:36 @[ attention_bwd.py:19:19 ]
	v_mov_b32_dpp v131, v131 row_shr:8 row_mask:0xf bank_mask:0xf bound_ctrl:1
	v_mov_b32_dpp v133, v133 row_shr:8 row_mask:0xf bank_mask:0xf bound_ctrl:1
	s_delay_alu instid0(VALU_DEP_2) | instskip(NEXT) | instid1(VALU_DEP_2)
.Ltmp1:
	.loc	2 263 15                        ; standard.py:263:15 @[ standard.py:293:36 @[ attention_bwd.py:19:19 ] ]
	v_fma_mix_f32 v142, v45, v42, v131 op_sel_hi:[1,1,0]
	v_fma_mix_f32 v143, v44, v40, v133 op_sel_hi:[1,1,0]
.Ltmp2:
	.loc	1 19 23                         ; attention_bwd.py:19:23
	s_wait_loadcnt 0x3
	v_cvt_f32_f16_e32 v44, v38
	v_cvt_f32_f16_e32 v42, v43
	;; [unrolled: 1-line block ×3, first 2 shown]
	s_wait_loadcnt 0x0
	v_cvt_f32_f16_e64 v133, v37
	v_cvt_f32_f16_e64 v131, v39
	v_mul_f32_e32 v44, v44, v134
	.loc	1 18 17                         ; attention_bwd.py:18:17
	s_clause 0x7
	global_load_u16 v60, v29, s[22:23]
	global_load_u16 v59, v29, s[14:15]
	;; [unrolled: 1-line block ×8, first 2 shown]
	.loc	1 18 50 is_stmt 0               ; attention_bwd.py:18:50
	s_add_nc_u64 s[14:15], s[6:7], s[34:35]
	.loc	1 18 17                         ; attention_bwd.py:18:17
	s_clause 0x9
	global_load_u16 v50, v29, s[48:49]
	global_load_u16 v49, v29, s[14:15]
	;; [unrolled: 1-line block ×10, first 2 shown]
	.loc	1 13 54 is_stmt 1               ; attention_bwd.py:13:54
	s_or_b32 s21, s99, 0x4e
	s_or_b32 s22, s99, 0x52
	v_writelane_b32 v150, s21, 8
	s_or_b32 s23, s99, 0x56
	s_or_b32 s24, s99, 0x5a
	.loc	1 17 48                         ; attention_bwd.py:17:48
	s_add_nc_u64 s[16:17], s[4:5], s[30:31]
	s_add_nc_u64 s[10:11], s[4:5], s[34:35]
	v_writelane_b32 v150, s22, 9
	.loc	1 17 16 is_stmt 0               ; attention_bwd.py:17:16
	s_clause 0x1
	global_load_u16 v55, v29, s[16:17]
	global_load_u16 v53, v29, s[10:11]
	.loc	1 13 54 is_stmt 1               ; attention_bwd.py:13:54
	s_or_b32 s10, s99, 0x5e
	.loc	1 13 41 is_stmt 0               ; attention_bwd.py:13:41
	s_or_b32 s11, s98, s33
	s_or_b32 s25, s10, s33
	v_writelane_b32 v150, s23, 10
	s_or_b32 s12, s97, s33
	s_or_b32 s13, s96, s33
	;; [unrolled: 1-line block ×3, first 2 shown]
	.loc	1 17 65 is_stmt 1               ; attention_bwd.py:17:65
	s_lshl_b32 s26, s11, 6
	v_writelane_b32 v150, s24, 11
	.loc	1 13 41                         ; attention_bwd.py:13:41
	s_or_b32 s15, s94, s33
	s_or_b32 s16, s93, s33
	;; [unrolled: 1-line block ×3, first 2 shown]
	.loc	1 17 65                         ; attention_bwd.py:17:65
	s_or_b32 s28, s8, 0xa00
	v_writelane_b32 v150, s10, 12
	s_or_b32 s10, s8, 0x900
	s_wait_alu depctr_sa_sdst(0)
	s_lshl_b32 s30, s12, 6
	.loc	1 17 48 is_stmt 0               ; attention_bwd.py:17:48
	s_ashr_i32 s11, s10, 31
	.loc	1 17 65                         ; attention_bwd.py:17:65
	s_lshl_b32 s36, s13, 6
	s_lshl_b32 s40, s14, 6
	s_or_b32 s42, s8, 0xd00
	s_or_b32 s14, s8, 0x1500
	.loc	1 17 48                         ; attention_bwd.py:17:48
	s_wait_alu depctr_sa_sdst(0)
	s_lshl_b64 s[12:13], s[10:11], 1
	s_ashr_i32 s27, s26, 31
	.loc	1 13 41 is_stmt 1               ; attention_bwd.py:13:41
	s_or_b32 s17, s92, s33
	s_or_b32 s18, s77, s33
	;; [unrolled: 1-line block ×4, first 2 shown]
	.loc	1 17 65                         ; attention_bwd.py:17:65
	s_lshl_b32 s44, s15, 6
	s_lshl_b32 s48, s16, 6
	;; [unrolled: 1-line block ×3, first 2 shown]
	.loc	1 17 48 is_stmt 0               ; attention_bwd.py:17:48
	s_wait_alu depctr_sa_sdst(0)
	s_add_nc_u64 s[10:11], s[4:5], s[12:13]
	s_lshl_b64 s[72:73], s[26:27], 1
	s_ashr_i32 s29, s28, 31
	s_ashr_i32 s31, s30, 31
	;; [unrolled: 1-line block ×3, first 2 shown]
	.loc	1 18 50 is_stmt 1               ; attention_bwd.py:18:50
	s_add_nc_u64 s[12:13], s[6:7], s[12:13]
	.loc	1 17 48                         ; attention_bwd.py:17:48
	s_ashr_i32 s15, s14, 31
	.loc	1 13 41                         ; attention_bwd.py:13:41
	s_or_b32 s20, s104, s33
	s_or_b32 s24, s24, s33
	.loc	1 17 65                         ; attention_bwd.py:17:65
	s_or_b32 s34, s8, 0xb00
	s_lshl_b32 s54, s17, 6
	s_lshl_b32 s60, s18, 6
	;; [unrolled: 1-line block ×4, first 2 shown]
	s_or_b32 s18, s8, 0x1600
	.loc	1 17 16 is_stmt 0               ; attention_bwd.py:17:16
	s_clause 0x1
	global_load_u16 v82, v29, s[10:11]
	global_load_u16 v105, v29, s[12:13]
	.loc	1 17 48                         ; attention_bwd.py:17:48
	s_add_nc_u64 s[10:11], s[4:5], s[72:73]
	s_lshl_b64 s[70:71], s[28:29], 1
	s_lshl_b64 s[58:59], s[30:31], 1
	;; [unrolled: 1-line block ×6, first 2 shown]
	s_wait_alu depctr_sa_sdst(0)
	s_lshl_b64 s[74:75], s[14:15], 1
	.loc	1 18 50 is_stmt 1               ; attention_bwd.py:18:50
	s_add_nc_u64 s[14:15], s[6:7], s[72:73]
	.loc	1 17 48                         ; attention_bwd.py:17:48
	s_ashr_i32 s17, s16, 31
	.loc	1 17 65 is_stmt 0               ; attention_bwd.py:17:65
	s_or_b32 s38, s8, 0xc00
	s_or_b32 s46, s8, 0xe00
	s_lshl_b32 s68, s20, 6
	s_lshl_b32 s20, s24, 6
	.loc	1 17 16                         ; attention_bwd.py:17:16
	s_clause 0x1
	global_load_u16 v79, v29, s[10:11]
	global_load_u16 v109, v29, s[14:15]
	.loc	1 17 48                         ; attention_bwd.py:17:48
	s_add_nc_u64 s[10:11], s[4:5], s[70:71]
	s_ashr_i32 s35, s34, 31
	s_ashr_i32 s37, s36, 31
	;; [unrolled: 1-line block ×6, first 2 shown]
	s_wait_alu depctr_sa_sdst(0)
	s_lshl_b64 s[72:73], s[16:17], 1
	.loc	1 18 50 is_stmt 1               ; attention_bwd.py:18:50
	s_add_nc_u64 s[16:17], s[6:7], s[70:71]
	.loc	1 17 48                         ; attention_bwd.py:17:48
	s_ashr_i32 s19, s18, 31
	.loc	1 17 16 is_stmt 0               ; attention_bwd.py:17:16
	s_clause 0x1
	global_load_u16 v80, v29, s[10:11]
	global_load_u16 v110, v29, s[16:17]
	.loc	1 17 48                         ; attention_bwd.py:17:48
	s_add_nc_u64 s[10:11], s[4:5], s[58:59]
	s_lshl_b64 s[50:51], s[34:35], 1
	s_lshl_b64 s[34:35], s[36:37], 1
	s_ashr_i32 s39, s38, 31
	s_lshl_b64 s[36:37], s[44:45], 1
	s_ashr_i32 s47, s46, 31
	s_lshl_b64 s[44:45], s[54:55], 1
	s_lshl_b64 s[54:55], s[64:65], 1
	;; [unrolled: 1-line block ×4, first 2 shown]
	.loc	1 18 50 is_stmt 1               ; attention_bwd.py:18:50
	s_add_nc_u64 s[18:19], s[6:7], s[58:59]
	.loc	1 17 48                         ; attention_bwd.py:17:48
	s_ashr_i32 s21, s20, 31
	.loc	1 17 16 is_stmt 0               ; attention_bwd.py:17:16
	s_clause 0x1
	global_load_u16 v81, v29, s[10:11]
	global_load_u16 v117, v29, s[18:19]
	.loc	1 17 48                         ; attention_bwd.py:17:48
	s_wait_alu depctr_sa_sdst(0)
	s_add_nc_u64 s[10:11], s[4:5], s[50:51]
	s_lshl_b64 s[28:29], s[38:39], 1
	s_lshl_b64 s[38:39], s[46:47], 1
	;; [unrolled: 1-line block ×6, first 2 shown]
	.loc	1 18 50 is_stmt 1               ; attention_bwd.py:18:50
	s_add_nc_u64 s[20:21], s[6:7], s[50:51]
	.loc	1 17 16                         ; attention_bwd.py:17:16
	s_clause 0x1
	global_load_u16 v73, v29, s[10:11]
	global_load_u16 v118, v29, s[20:21]
	.loc	1 17 48 is_stmt 0               ; attention_bwd.py:17:48
	s_add_nc_u64 s[10:11], s[4:5], s[34:35]
	s_ashr_i32 s41, s40, 31
	.loc	1 17 16                         ; attention_bwd.py:17:16
	global_load_u16 v74, v29, s[10:11]
	.loc	1 18 50 is_stmt 1               ; attention_bwd.py:18:50
	s_add_nc_u64 s[34:35], s[6:7], s[34:35]
	.loc	1 17 48                         ; attention_bwd.py:17:48
	s_lshl_b64 s[26:27], s[40:41], 1
	.loc	1 18 17                         ; attention_bwd.py:18:17
	global_load_u16 v120, v29, s[34:35]
	.loc	1 17 48                         ; attention_bwd.py:17:48
	s_add_nc_u64 s[10:11], s[4:5], s[28:29]
	.loc	1 18 50                         ; attention_bwd.py:18:50
	s_add_nc_u64 s[28:29], s[6:7], s[28:29]
	.loc	1 17 16                         ; attention_bwd.py:17:16
	s_clause 0x1
	global_load_u16 v78, v29, s[10:11]
	global_load_u16 v123, v29, s[28:29]
	.loc	1 17 48 is_stmt 0               ; attention_bwd.py:17:48
	s_add_nc_u64 s[10:11], s[4:5], s[26:27]
	.loc	1 18 50 is_stmt 1               ; attention_bwd.py:18:50
	s_add_nc_u64 s[26:27], s[6:7], s[26:27]
	.loc	1 17 16                         ; attention_bwd.py:17:16
	s_clause 0x1
	global_load_u16 v76, v29, s[10:11]
	global_load_u16 v126, v29, s[26:27]
	.loc	1 17 48 is_stmt 0               ; attention_bwd.py:17:48
	s_add_nc_u64 s[10:11], s[4:5], s[30:31]
	s_ashr_i32 s49, s48, 31
	.loc	1 17 16                         ; attention_bwd.py:17:16
	global_load_u16 v77, v29, s[10:11]
	.loc	1 17 48                         ; attention_bwd.py:17:48
	s_add_nc_u64 s[10:11], s[4:5], s[36:37]
	s_lshl_b64 s[40:41], s[48:49], 1
	.loc	1 17 16                         ; attention_bwd.py:17:16
	global_load_u16 v75, v29, s[10:11]
	.loc	1 17 48                         ; attention_bwd.py:17:48
	s_add_nc_u64 s[10:11], s[4:5], s[38:39]
	s_ashr_i32 s61, s60, 31
	.loc	1 17 16                         ; attention_bwd.py:17:16
	global_load_u16 v72, v29, s[10:11]
	.loc	1 17 48                         ; attention_bwd.py:17:48
	s_add_nc_u64 s[10:11], s[4:5], s[40:41]
	s_lshl_b64 s[48:49], s[60:61], 1
	.loc	1 17 16                         ; attention_bwd.py:17:16
	global_load_u16 v70, v29, s[10:11]
	.loc	1 17 48                         ; attention_bwd.py:17:48
	s_add_nc_u64 s[10:11], s[4:5], s[42:43]
	s_ashr_i32 s69, s68, 31
	.loc	1 17 16                         ; attention_bwd.py:17:16
	global_load_u16 v71, v29, s[10:11]
	.loc	1 17 48                         ; attention_bwd.py:17:48
	s_add_nc_u64 s[10:11], s[4:5], s[44:45]
	.loc	1 13 41 is_stmt 1               ; attention_bwd.py:13:41
	s_or_b32 s22, s22, s33
	.loc	1 17 16                         ; attention_bwd.py:17:16
	global_load_u16 v69, v29, s[10:11]
	.loc	1 17 48 is_stmt 0               ; attention_bwd.py:17:48
	s_add_nc_u64 s[10:11], s[4:5], s[46:47]
	s_lshl_b64 s[60:61], s[68:69], 1
	.loc	1 17 16                         ; attention_bwd.py:17:16
	global_load_u16 v66, v29, s[10:11]
	.loc	1 17 48                         ; attention_bwd.py:17:48
	s_add_nc_u64 s[10:11], s[4:5], s[48:49]
	.loc	1 17 65                         ; attention_bwd.py:17:65
	s_wait_alu depctr_sa_sdst(0)
	s_lshl_b32 vcc_lo, s22, 6
	.loc	1 17 16                         ; attention_bwd.py:17:16
	global_load_u16 v67, v29, s[10:11]
	.loc	1 17 48                         ; attention_bwd.py:17:48
	s_add_nc_u64 s[10:11], s[4:5], s[52:53]
	.loc	1 17 65                         ; attention_bwd.py:17:65
	s_or_b32 s22, s8, 0x1700
	.loc	1 17 16                         ; attention_bwd.py:17:16
	global_load_u16 v68, v29, s[10:11]
	.loc	1 17 48                         ; attention_bwd.py:17:48
	s_add_nc_u64 s[10:11], s[4:5], s[54:55]
	.loc	1 17 65                         ; attention_bwd.py:17:65
	s_lshl_b32 s24, s25, 6
	.loc	1 17 16                         ; attention_bwd.py:17:16
	global_load_u16 v4, v29, s[10:11]
	.loc	1 17 48                         ; attention_bwd.py:17:48
	s_add_nc_u64 s[10:11], s[4:5], s[56:57]
	s_ashr_i32 vcc_hi, vcc_lo, 31
	.loc	1 17 16                         ; attention_bwd.py:17:16
	global_load_u16 v5, v29, s[10:11]
	.loc	1 17 48                         ; attention_bwd.py:17:48
	s_add_nc_u64 s[10:11], s[4:5], s[60:61]
	s_wait_alu depctr_sa_sdst(0)
	s_ashr_i32 s23, s22, 31
	.loc	1 17 16                         ; attention_bwd.py:17:16
	global_load_u16 v6, v29, s[10:11]
	.loc	1 17 48                         ; attention_bwd.py:17:48
	s_add_nc_u64 s[10:11], s[4:5], s[62:63]
	s_ashr_i32 s25, s24, 31
	.loc	1 17 16                         ; attention_bwd.py:17:16
	global_load_u16 v7, v29, s[10:11]
	.loc	1 17 48                         ; attention_bwd.py:17:48
	s_add_nc_u64 s[10:11], s[4:5], s[64:65]
	s_lshl_b64 s[68:69], vcc, 1
	s_wait_alu depctr_sa_sdst(0)
	s_lshl_b64 vcc, s[22:23], 1
	s_lshl_b64 s[78:79], s[24:25], 1
	.loc	1 18 50 is_stmt 1               ; attention_bwd.py:18:50
	s_add_nc_u64 s[80:81], s[6:7], s[30:31]
	s_add_nc_u64 s[82:83], s[6:7], s[36:37]
	.loc	1 17 16                         ; attention_bwd.py:17:16
	global_load_u16 v3, v29, s[10:11]
	.loc	1 17 48 is_stmt 0               ; attention_bwd.py:17:48
	s_add_nc_u64 s[10:11], s[4:5], s[66:67]
	s_add_nc_u64 s[12:13], s[4:5], s[68:69]
	;; [unrolled: 1-line block ×6, first 2 shown]
	s_add_nc_u64 s[22:23], s[4:5], vcc
	s_add_nc_u64 s[24:25], s[4:5], s[78:79]
	.loc	1 18 50 is_stmt 1               ; attention_bwd.py:18:50
	s_add_nc_u64 s[84:85], s[6:7], s[38:39]
	s_add_nc_u64 s[86:87], s[6:7], s[40:41]
	;; [unrolled: 1-line block ×18, first 2 shown]
	s_add_nc_u64 s[28:29], s[6:7], vcc
	s_add_nc_u64 s[26:27], s[6:7], s[78:79]
	.loc	1 18 17 is_stmt 0               ; attention_bwd.py:18:17
	s_clause 0x1d
	global_load_u16 v127, v29, s[80:81]
	global_load_u16 v125, v29, s[82:83]
	;; [unrolled: 1-line block ×30, first 2 shown]
	.loc	1 13 54 is_stmt 1               ; attention_bwd.py:13:54
	s_or_b32 s45, s99, 0x62
	s_or_b32 s44, s99, 0x66
	;; [unrolled: 1-line block ×4, first 2 shown]
	.loc	1 13 41 is_stmt 0               ; attention_bwd.py:13:41
	s_or_b32 s11, s45, s33
	s_or_b32 s13, s44, s33
	;; [unrolled: 1-line block ×4, first 2 shown]
	.loc	1 17 65 is_stmt 1               ; attention_bwd.py:17:65
	s_or_b32 s10, s8, 0x1800
	s_wait_alu depctr_sa_sdst(0)
	s_lshl_b32 s12, s11, 6
	s_or_b32 s14, s8, 0x1900
	s_lshl_b32 s16, s13, 6
	s_or_b32 s18, s8, 0x1a00
	s_lshl_b32 s22, s15, 6
	.loc	1 17 48 is_stmt 0               ; attention_bwd.py:17:48
	s_ashr_i32 s11, s10, 31
	.loc	1 17 65                         ; attention_bwd.py:17:65
	s_or_b32 s24, s8, 0x1b00
	s_lshl_b32 s20, s17, 6
	.loc	1 17 48                         ; attention_bwd.py:17:48
	s_wait_alu depctr_sa_sdst(0)
	s_ashr_i32 s13, s12, 31
	s_lshl_b64 s[28:29], s[10:11], 1
	s_ashr_i32 s15, s14, 31
	s_ashr_i32 s17, s16, 31
	;; [unrolled: 1-line block ×6, first 2 shown]
	s_wait_alu depctr_sa_sdst(0)
	s_lshl_b64 s[30:31], s[12:13], 1
	s_add_nc_u64 s[10:11], s[4:5], s[28:29]
	s_lshl_b64 s[34:35], s[14:15], 1
	s_lshl_b64 s[36:37], s[16:17], 1
	;; [unrolled: 1-line block ×5, first 2 shown]
	.loc	1 18 50 is_stmt 1               ; attention_bwd.py:18:50
	s_add_nc_u64 s[28:29], s[6:7], s[28:29]
	.loc	1 17 48                         ; attention_bwd.py:17:48
	s_lshl_b64 s[20:21], s[20:21], 1
	s_add_nc_u64 s[12:13], s[4:5], s[30:31]
	.loc	1 18 50                         ; attention_bwd.py:18:50
	s_add_nc_u64 s[30:31], s[6:7], s[30:31]
	.loc	1 17 48                         ; attention_bwd.py:17:48
	s_add_nc_u64 s[14:15], s[4:5], s[34:35]
	s_add_nc_u64 s[16:17], s[4:5], s[36:37]
	;; [unrolled: 1-line block ×4, first 2 shown]
	s_wait_alu depctr_sa_sdst(0)
	s_add_nc_u64 s[26:27], s[4:5], s[22:23]
	.loc	1 18 50                         ; attention_bwd.py:18:50
	s_add_nc_u64 s[34:35], s[6:7], s[34:35]
	s_add_nc_u64 s[36:37], s[6:7], s[36:37]
	;; [unrolled: 1-line block ×6, first 2 shown]
	.loc	1 17 48                         ; attention_bwd.py:17:48
	s_add_nc_u64 s[20:21], s[4:5], s[20:21]
	.loc	1 18 17                         ; attention_bwd.py:18:17
	s_clause 0xf
	global_load_u16 v107, v29, s[28:29]
	global_load_u16 v87, v29, s[30:31]
	;; [unrolled: 1-line block ×16, first 2 shown]
	.loc	1 13 54                         ; attention_bwd.py:13:54
	s_or_b32 s13, s99, 0x72
	s_or_b32 s12, s99, 0x76
	;; [unrolled: 1-line block ×3, first 2 shown]
	.loc	1 13 41 is_stmt 0               ; attention_bwd.py:13:41
	s_wait_alu depctr_sa_sdst(0)
	s_or_b32 s15, s13, s33
	s_or_b32 s17, s12, s33
	.loc	1 17 65 is_stmt 1               ; attention_bwd.py:17:65
	s_or_b32 s14, s8, 0x1c00
	.loc	1 13 41                         ; attention_bwd.py:13:41
	s_or_b32 s19, s11, s33
	.loc	1 17 65                         ; attention_bwd.py:17:65
	s_wait_alu depctr_sa_sdst(0)
	s_lshl_b32 s16, s15, 6
	s_or_b32 s18, s8, 0x1d00
	s_lshl_b32 s20, s17, 6
	.loc	1 17 48 is_stmt 0               ; attention_bwd.py:17:48
	s_ashr_i32 s15, s14, 31
	.loc	1 17 65                         ; attention_bwd.py:17:65
	s_lshl_b32 s24, s19, 6
	.loc	1 17 48                         ; attention_bwd.py:17:48
	s_wait_alu depctr_sa_sdst(0)
	s_ashr_i32 s17, s16, 31
	s_lshl_b64 s[14:15], s[14:15], 1
	s_ashr_i32 s19, s18, 31
	s_ashr_i32 s21, s20, 31
	s_wait_alu depctr_sa_sdst(0)
	s_lshl_b64 s[16:17], s[16:17], 1
	s_add_nc_u64 s[26:27], s[4:5], s[14:15]
	s_lshl_b64 s[18:19], s[18:19], 1
	s_lshl_b64 s[20:21], s[20:21], 1
	.loc	1 18 50 is_stmt 1               ; attention_bwd.py:18:50
	s_add_nc_u64 s[14:15], s[6:7], s[14:15]
	.loc	1 17 48                         ; attention_bwd.py:17:48
	s_wait_alu depctr_sa_sdst(0)
	s_add_nc_u64 s[28:29], s[4:5], s[16:17]
	s_add_nc_u64 s[30:31], s[4:5], s[18:19]
	;; [unrolled: 1-line block ×3, first 2 shown]
	.loc	1 18 50                         ; attention_bwd.py:18:50
	s_add_nc_u64 s[16:17], s[6:7], s[16:17]
	s_add_nc_u64 s[18:19], s[6:7], s[18:19]
	;; [unrolled: 1-line block ×3, first 2 shown]
	.loc	1 18 17 is_stmt 0               ; attention_bwd.py:18:17
	s_clause 0x7
	global_load_u16 v111, v29, s[14:15]
	global_load_u16 v112, v29, s[26:27]
	;; [unrolled: 1-line block ×8, first 2 shown]
	.loc	1 17 65 is_stmt 1               ; attention_bwd.py:17:65
	s_or_b32 s22, s8, 0x1e00
	.loc	1 17 48 is_stmt 0               ; attention_bwd.py:17:48
	s_ashr_i32 s25, s24, 31
	s_wait_alu depctr_sa_sdst(0)
	s_ashr_i32 s23, s22, 31
	s_lshl_b64 s[16:17], s[24:25], 1
	s_wait_alu depctr_sa_sdst(0)
	s_lshl_b64 s[14:15], s[22:23], 1
	.loc	1 13 54 is_stmt 1               ; attention_bwd.py:13:54
	s_or_b32 s10, s99, 0x7e
	.loc	1 18 50                         ; attention_bwd.py:18:50
	s_wait_alu depctr_sa_sdst(0)
	s_add_nc_u64 s[18:19], s[6:7], s[14:15]
	.loc	1 17 48                         ; attention_bwd.py:17:48
	s_add_nc_u64 s[14:15], s[4:5], s[14:15]
	.loc	1 18 17                         ; attention_bwd.py:18:17
	s_clause 0x1
	global_load_u16 v99, v29, s[18:19]
	global_load_u16 v100, v29, s[14:15]
	.loc	1 18 50 is_stmt 0               ; attention_bwd.py:18:50
	s_add_nc_u64 s[14:15], s[6:7], s[16:17]
	.loc	1 17 48 is_stmt 1               ; attention_bwd.py:17:48
	s_add_nc_u64 s[16:17], s[4:5], s[16:17]
	.loc	1 18 17                         ; attention_bwd.py:18:17
	s_clause 0x1
	global_load_u16 v101, v29, s[14:15]
	global_load_u16 v102, v29, s[16:17]
	.loc	1 17 65                         ; attention_bwd.py:17:65
	s_or_b32 s14, s8, 0x1f00
	.loc	1 13 41                         ; attention_bwd.py:13:41
	s_or_b32 s18, s10, s33
	.loc	1 17 48                         ; attention_bwd.py:17:48
	s_wait_alu depctr_sa_sdst(0)
	s_ashr_i32 s15, s14, 31
	.loc	1 17 65 is_stmt 0               ; attention_bwd.py:17:65
	s_lshl_b32 s16, s18, 6
	.loc	1 17 48                         ; attention_bwd.py:17:48
	s_wait_alu depctr_sa_sdst(0)
	s_lshl_b64 s[14:15], s[14:15], 1
	s_ashr_i32 s17, s16, 31
	.loc	1 18 50 is_stmt 1               ; attention_bwd.py:18:50
	s_wait_alu depctr_sa_sdst(0)
	s_add_nc_u64 s[18:19], s[6:7], s[14:15]
	.loc	1 17 48                         ; attention_bwd.py:17:48
	s_add_nc_u64 s[14:15], s[4:5], s[14:15]
	.loc	1 18 17                         ; attention_bwd.py:18:17
	s_clause 0x1
	global_load_u16 v103, v29, s[18:19]
	global_load_u16 v104, v29, s[14:15]
	.loc	1 17 48                         ; attention_bwd.py:17:48
	s_lshl_b64 s[16:17], s[16:17], 1
	.loc	1 19 23                         ; attention_bwd.py:19:23
	v_mul_f32_e32 v42, v42, v132
	.loc	1 18 50                         ; attention_bwd.py:18:50
	s_wait_alu depctr_sa_sdst(0)
	s_add_nc_u64 s[6:7], s[6:7], s[16:17]
	.loc	1 17 48                         ; attention_bwd.py:17:48
	s_add_nc_u64 s[4:5], s[4:5], s[16:17]
	.loc	1 18 17                         ; attention_bwd.py:18:17
	s_clause 0x1
	global_load_u16 v106, v29, s[6:7]
	global_load_u16 v29, v29, s[4:5]
	.loc	1 19 23                         ; attention_bwd.py:19:23
	v_cvt_f32_f16_e64 v132, v36
	v_mul_f32_e32 v45, v45, v135
.Ltmp3:
	.loc	2 293 36                        ; standard.py:293:36 @[ attention_bwd.py:19:19 ]
	v_mov_b32_dpp v42, v42 row_shr:8 row_mask:0xf bank_mask:0xf bound_ctrl:1
	v_cmp_eq_u32_e32 vcc_lo, 0, v2
	s_and_b32 s99, s3, 1
.Ltmp4:
	.loc	1 19 23                         ; attention_bwd.py:19:23
	v_mul_f32_e32 v132, v132, v137
.Ltmp5:
	.loc	2 293 36                        ; standard.py:293:36 @[ attention_bwd.py:19:19 ]
	v_mov_b32_dpp v45, v45 row_shr:8 row_mask:0xf bank_mask:0xf bound_ctrl:1
.Ltmp6:
	.loc	2 263 15                        ; standard.py:263:15 @[ standard.py:293:36 @[ attention_bwd.py:19:19 ] ]
	v_fma_mix_f32 v144, v43, v35, v42 op_sel_hi:[1,1,0]
.Ltmp7:
	.loc	2 293 36                        ; standard.py:293:36 @[ attention_bwd.py:19:19 ]
	v_mov_b32_dpp v42, v44 row_shr:8 row_mask:0xf bank_mask:0xf bound_ctrl:1
.Ltmp8:
	.loc	1 18 97                         ; attention_bwd.py:18:97
	s_wait_loadcnt 0x3e
	v_cvt_f32_f16_e32 v40, v60
.Ltmp9:
	.loc	2 263 15                        ; standard.py:263:15 @[ standard.py:293:36 @[ attention_bwd.py:19:19 ] ]
	v_fma_mix_f32 v145, v41, v34, v45 op_sel_hi:[1,1,0]
.Ltmp10:
	.loc	1 19 23                         ; attention_bwd.py:19:23
	v_cvt_f32_f16_e64 v134, v65
	v_mul_f32_e32 v133, v133, v138
.Ltmp11:
	.loc	2 293 36                        ; standard.py:293:36 @[ attention_bwd.py:19:19 ]
	v_mov_b32_dpp v34, v132 row_shr:8 row_mask:0xf bank_mask:0xf bound_ctrl:1
.Ltmp12:
	.loc	1 18 97                         ; attention_bwd.py:18:97
	v_cvt_f32_f16_e64 v135, v59
.Ltmp13:
	.loc	2 263 15                        ; standard.py:263:15 @[ standard.py:293:36 @[ attention_bwd.py:19:19 ] ]
	v_fma_mix_f32 v146, v38, v32, v42 op_sel_hi:[1,1,0]
.Ltmp14:
	.loc	1 19 23                         ; attention_bwd.py:19:23
	v_mul_f32_e32 v40, v134, v40
.Ltmp15:
	.loc	2 293 36                        ; standard.py:293:36 @[ attention_bwd.py:19:19 ]
	v_mov_b32_dpp v41, v133 row_shr:8 row_mask:0xf bank_mask:0xf bound_ctrl:1
.Ltmp16:
	.loc	2 263 15                        ; standard.py:263:15 @[ standard.py:293:36 @[ attention_bwd.py:19:19 ] ]
	v_fma_mix_f32 v148, v36, v30, v34 op_sel_hi:[1,1,0]
.Ltmp17:
	.loc	1 18 97                         ; attention_bwd.py:18:97
	v_cvt_f32_f16_e32 v30, v54
	.loc	1 19 23                         ; attention_bwd.py:19:23
	v_cvt_f32_f16_e32 v34, v62
	v_mul_f32_e32 v131, v131, v136
.Ltmp18:
	.loc	2 263 15                        ; standard.py:263:15 @[ standard.py:293:36 @[ attention_bwd.py:19:19 ] ]
	v_fma_mix_f32 v149, v37, v31, v41 op_sel_hi:[1,1,0]
.Ltmp19:
	.loc	1 19 23                         ; attention_bwd.py:19:23
	v_cvt_f32_f16_e32 v31, v63
	v_cvt_f32_f16_e64 v136, v64
.Ltmp20:
	.loc	2 293 36                        ; standard.py:293:36 @[ attention_bwd.py:19:19 ]
	v_mov_b32_dpp v32, v40 row_shr:8 row_mask:0xf bank_mask:0xf bound_ctrl:1
	v_mov_b32_dpp v43, v131 row_shr:8 row_mask:0xf bank_mask:0xf bound_ctrl:1
.Ltmp21:
	.loc	1 19 23                         ; attention_bwd.py:19:23
	v_cvt_f32_f16_e32 v37, v57
	v_mul_f32_e32 v30, v31, v30
	.loc	1 18 97                         ; attention_bwd.py:18:97
	v_cvt_f32_f16_e32 v31, v51
.Ltmp22:
	.loc	2 263 15                        ; standard.py:263:15 @[ standard.py:293:36 @[ attention_bwd.py:19:19 ] ]
	v_fma_mix_f32 v137, v65, v60, v32 op_sel_hi:[1,1,0]
	v_fma_mix_f32 v147, v39, v33, v43 op_sel_hi:[1,1,0]
.Ltmp23:
	.loc	1 18 97                         ; attention_bwd.py:18:97
	v_cvt_f32_f16_e32 v33, v52
.Ltmp24:
	.loc	2 293 36                        ; standard.py:293:36 @[ attention_bwd.py:19:19 ]
	v_mov_b32_dpp v30, v30 row_shr:8 row_mask:0xf bank_mask:0xf bound_ctrl:1
.Ltmp25:
	.loc	1 19 23                         ; attention_bwd.py:19:23
	v_cvt_f32_f16_e32 v36, v56
	v_cvt_f32_f16_e32 v38, v53
	s_delay_alu instid0(VALU_DEP_3) | instskip(SKIP_1) | instid1(VALU_DEP_1)
.Ltmp26:
	.loc	2 263 15                        ; standard.py:263:15 @[ standard.py:293:36 @[ attention_bwd.py:19:19 ] ]
	v_fma_mix_f32 v141, v63, v54, v30 op_sel_hi:[1,1,0]
.Ltmp27:
	.loc	1 18 97                         ; attention_bwd.py:18:97
	v_cvt_f32_f16_e32 v30, v47
	.loc	1 19 23                         ; attention_bwd.py:19:23
	v_dual_mul_f32 v35, v136, v135 :: v_dual_mul_f32 v30, v37, v30
	s_delay_alu instid0(VALU_DEP_1) | instskip(SKIP_1) | instid1(VALU_DEP_3)
.Ltmp28:
	.loc	2 293 36                        ; standard.py:293:36 @[ attention_bwd.py:19:19 ]
	v_mov_b32_dpp v32, v35 row_shr:8 row_mask:0xf bank_mask:0xf bound_ctrl:1
.Ltmp29:
	.loc	1 19 23                         ; attention_bwd.py:19:23
	v_cvt_f32_f16_e32 v35, v61
.Ltmp30:
	.loc	2 293 36                        ; standard.py:293:36 @[ attention_bwd.py:19:19 ]
	v_mov_b32_dpp v30, v30 row_shr:8 row_mask:0xf bank_mask:0xf bound_ctrl:1
	s_delay_alu instid0(VALU_DEP_3) | instskip(SKIP_4) | instid1(VALU_DEP_4)
.Ltmp31:
	.loc	2 263 15                        ; standard.py:263:15 @[ standard.py:293:36 @[ attention_bwd.py:19:19 ] ]
	v_fma_mix_f32 v139, v64, v59, v32 op_sel_hi:[1,1,0]
.Ltmp32:
	.loc	1 19 23                         ; attention_bwd.py:19:23
	v_mul_f32_e32 v32, v34, v33
	.loc	1 18 97                         ; attention_bwd.py:18:97
	v_cvt_f32_f16_e32 v33, v48
	v_cvt_f32_f16_e32 v34, v46
.Ltmp33:
	.loc	2 263 15                        ; standard.py:263:15 @[ standard.py:293:36 @[ attention_bwd.py:19:19 ] ]
	v_fma_mix_f32 v134, v57, v47, v30 op_sel_hi:[1,1,0]
.Ltmp34:
	.loc	2 293 36                        ; standard.py:293:36 @[ attention_bwd.py:19:19 ]
	v_mov_b32_dpp v32, v32 row_shr:8 row_mask:0xf bank_mask:0xf bound_ctrl:1
	s_delay_alu instid0(VALU_DEP_1) | instskip(SKIP_3) | instid1(VALU_DEP_3)
.Ltmp35:
	.loc	2 263 15                        ; standard.py:263:15 @[ standard.py:293:36 @[ attention_bwd.py:19:19 ] ]
	v_fma_mix_f32 v140, v62, v52, v32 op_sel_hi:[1,1,0]
.Ltmp36:
	.loc	1 19 23                         ; attention_bwd.py:19:23
	v_cvt_f32_f16_e32 v32, v58
	v_mul_f32_e32 v31, v35, v31
	.loc	1 18 97                         ; attention_bwd.py:18:97
	v_cvt_f32_f16_e32 v35, v50
	.loc	1 19 23                         ; attention_bwd.py:19:23
	v_mul_f32_e32 v32, v32, v33
	v_cvt_f32_f16_e32 v33, v55
	s_delay_alu instid0(VALU_DEP_4) | instskip(SKIP_1) | instid1(VALU_DEP_4)
.Ltmp37:
	.loc	2 293 36                        ; standard.py:293:36 @[ attention_bwd.py:19:19 ]
	v_mov_b32_dpp v31, v31 row_shr:8 row_mask:0xf bank_mask:0xf bound_ctrl:1
.Ltmp38:
	.loc	1 19 23                         ; attention_bwd.py:19:23
	v_mul_f32_e32 v34, v36, v34
.Ltmp39:
	.loc	2 293 36                        ; standard.py:293:36 @[ attention_bwd.py:19:19 ]
	v_mov_b32_dpp v32, v32 row_shr:8 row_mask:0xf bank_mask:0xf bound_ctrl:1
	s_delay_alu instid0(VALU_DEP_4) | instskip(NEXT) | instid1(VALU_DEP_4)
.Ltmp40:
	.loc	1 19 23                         ; attention_bwd.py:19:23
	v_mul_f32_e32 v33, v33, v35
.Ltmp41:
	.loc	2 263 15                        ; standard.py:263:15 @[ standard.py:293:36 @[ attention_bwd.py:19:19 ] ]
	v_fma_mix_f32 v138, v61, v51, v31 op_sel_hi:[1,1,0]
.Ltmp42:
	.loc	1 18 97                         ; attention_bwd.py:18:97
	v_cvt_f32_f16_e32 v31, v49
	.loc	1 19 23                         ; attention_bwd.py:19:23
	v_cvt_f32_f16_e32 v35, v82
.Ltmp43:
	.loc	2 263 15                        ; standard.py:263:15 @[ standard.py:293:36 @[ attention_bwd.py:19:19 ] ]
	v_fma_mix_f32 v136, v58, v48, v32 op_sel_hi:[1,1,0]
.Ltmp44:
	.loc	2 293 36                        ; standard.py:293:36 @[ attention_bwd.py:19:19 ]
	v_mov_b32_dpp v33, v33 row_shr:8 row_mask:0xf bank_mask:0xf bound_ctrl:1
.Ltmp45:
	.loc	1 18 97                         ; attention_bwd.py:18:97
	v_cvt_f32_f16_e32 v32, v105
.Ltmp46:
	.loc	2 293 36                        ; standard.py:293:36 @[ attention_bwd.py:19:19 ]
	v_mov_b32_dpp v34, v34 row_shr:8 row_mask:0xf bank_mask:0xf bound_ctrl:1
	s_delay_alu instid0(VALU_DEP_3) | instskip(NEXT) | instid1(VALU_DEP_2)
.Ltmp47:
	.loc	2 263 15                        ; standard.py:263:15 @[ standard.py:293:36 @[ attention_bwd.py:19:19 ] ]
	v_fma_mix_f32 v133, v55, v50, v33 op_sel_hi:[1,1,0]
	v_fma_mix_f32 v135, v56, v46, v34 op_sel_hi:[1,1,0]
.Ltmp48:
	.loc	1 19 23                         ; attention_bwd.py:19:23
	v_cvt_f32_f16_e32 v33, v79
	v_mul_f32_e32 v31, v38, v31
	s_delay_alu instid0(VALU_DEP_1) | instskip(NEXT) | instid1(VALU_DEP_1)
.Ltmp49:
	.loc	2 293 36                        ; standard.py:293:36 @[ attention_bwd.py:19:19 ]
	v_mov_b32_dpp v30, v31 row_shr:8 row_mask:0xf bank_mask:0xf bound_ctrl:1
.Ltmp50:
	.loc	2 263 15                        ; standard.py:263:15 @[ standard.py:293:36 @[ attention_bwd.py:19:19 ] ]
	v_fma_mix_f32 v132, v53, v49, v30 op_sel_hi:[1,1,0]
.Ltmp51:
	.loc	1 19 23                         ; attention_bwd.py:19:23
	v_cvt_f32_f16_e32 v34, v80
	v_cvt_f32_f16_e32 v36, v74
	v_mul_f32_e32 v31, v35, v32
	.loc	1 18 97                         ; attention_bwd.py:18:97
	v_cvt_f32_f16_e32 v32, v109
	.loc	1 19 23                         ; attention_bwd.py:19:23
	v_cvt_f32_f16_e32 v35, v81
	s_delay_alu instid0(VALU_DEP_3) | instskip(SKIP_1) | instid1(VALU_DEP_4)
.Ltmp52:
	.loc	2 293 36                        ; standard.py:293:36 @[ attention_bwd.py:19:19 ]
	v_mov_b32_dpp v30, v31 row_shr:8 row_mask:0xf bank_mask:0xf bound_ctrl:1
.Ltmp53:
	.loc	1 18 97                         ; attention_bwd.py:18:97
	v_cvt_f32_f16_e32 v31, v110
	.loc	1 19 23                         ; attention_bwd.py:19:23
	v_mul_f32_e32 v32, v33, v32
	.loc	1 18 97                         ; attention_bwd.py:18:97
	v_cvt_f32_f16_e32 v33, v117
	.loc	1 19 23                         ; attention_bwd.py:19:23
	v_cvt_f32_f16_e32 v37, v78
.Ltmp54:
	.loc	2 263 15                        ; standard.py:263:15 @[ standard.py:293:36 @[ attention_bwd.py:19:19 ] ]
	v_fma_mix_f32 v131, v82, v105, v30 op_sel_hi:[1,1,0]
.Ltmp55:
	.loc	1 19 23                         ; attention_bwd.py:19:23
	v_mul_f32_e32 v30, v34, v31
.Ltmp56:
	.loc	2 293 36                        ; standard.py:293:36 @[ attention_bwd.py:19:19 ]
	v_mov_b32_dpp v31, v32 row_shr:8 row_mask:0xf bank_mask:0xf bound_ctrl:1
.Ltmp57:
	.loc	1 19 23                         ; attention_bwd.py:19:23
	v_mul_f32_e32 v33, v35, v33
	.loc	1 18 97                         ; attention_bwd.py:18:97
	v_cvt_f32_f16_e32 v32, v118
	v_cvt_f32_f16_e32 v34, v120
.Ltmp58:
	.loc	2 293 36                        ; standard.py:293:36 @[ attention_bwd.py:19:19 ]
	v_mov_b32_dpp v30, v30 row_shr:8 row_mask:0xf bank_mask:0xf bound_ctrl:1
.Ltmp59:
	.loc	2 263 15                        ; standard.py:263:15 @[ standard.py:293:36 @[ attention_bwd.py:19:19 ] ]
	v_fma_mix_f32 v105, v79, v109, v31 op_sel_hi:[1,1,0]
.Ltmp60:
	.loc	1 18 97                         ; attention_bwd.py:18:97
	v_cvt_f32_f16_e32 v31, v123
.Ltmp61:
	.loc	2 293 36                        ; standard.py:293:36 @[ attention_bwd.py:19:19 ]
	v_mov_b32_dpp v33, v33 row_shr:8 row_mask:0xf bank_mask:0xf bound_ctrl:1
.Ltmp62:
	.loc	1 18 97                         ; attention_bwd.py:18:97
	v_cvt_f32_f16_e32 v35, v126
.Ltmp63:
	.loc	2 263 15                        ; standard.py:263:15 @[ standard.py:293:36 @[ attention_bwd.py:19:19 ] ]
	v_fma_mix_f32 v82, v80, v110, v30 op_sel_hi:[1,1,0]
.Ltmp64:
	.loc	1 19 23                         ; attention_bwd.py:19:23
	v_cvt_f32_f16_e32 v30, v73
	v_mul_f32_e32 v34, v36, v34
.Ltmp65:
	.loc	2 263 15                        ; standard.py:263:15 @[ standard.py:293:36 @[ attention_bwd.py:19:19 ] ]
	v_fma_mix_f32 v80, v81, v117, v33 op_sel_hi:[1,1,0]
.Ltmp66:
	.loc	1 19 23                         ; attention_bwd.py:19:23
	v_mul_f32_e32 v31, v37, v31
	v_cvt_f32_f16_e32 v37, v77
	v_mul_f32_e32 v30, v30, v32
	v_cvt_f32_f16_e32 v32, v76
.Ltmp67:
	.loc	2 293 36                        ; standard.py:293:36 @[ attention_bwd.py:19:19 ]
	v_mov_b32_dpp v34, v34 row_shr:8 row_mask:0xf bank_mask:0xf bound_ctrl:1
	v_mov_b32_dpp v31, v31 row_shr:8 row_mask:0xf bank_mask:0xf bound_ctrl:1
.Ltmp68:
	.loc	1 19 23                         ; attention_bwd.py:19:23
	v_cvt_f32_f16_e32 v39, v66
.Ltmp69:
	.loc	2 293 36                        ; standard.py:293:36 @[ attention_bwd.py:19:19 ]
	v_mov_b32_dpp v30, v30 row_shr:8 row_mask:0xf bank_mask:0xf bound_ctrl:1
.Ltmp70:
	.loc	1 19 23                         ; attention_bwd.py:19:23
	v_cvt_f32_f16_e32 v40, v67
	s_delay_alu instid0(VALU_DEP_4) | instskip(SKIP_1) | instid1(VALU_DEP_4)
.Ltmp71:
	.loc	2 263 15                        ; standard.py:263:15 @[ standard.py:293:36 @[ attention_bwd.py:19:19 ] ]
	v_fma_mix_f32 v78, v78, v123, v31 op_sel_hi:[1,1,0]
	v_fma_mix_f32 v79, v74, v120, v34 op_sel_hi:[1,1,0]
	;; [unrolled: 1-line block ×3, first 2 shown]
.Ltmp72:
	.loc	1 19 23                         ; attention_bwd.py:19:23
	v_cvt_f32_f16_e32 v42, v5
	v_cvt_f32_f16_e32 v43, v6
	.loc	1 18 97                         ; attention_bwd.py:18:97
	s_wait_loadcnt 0x3d
	v_cvt_f32_f16_e32 v33, v127
	s_wait_loadcnt 0x3c
	v_cvt_f32_f16_e32 v36, v125
	.loc	1 19 23                         ; attention_bwd.py:19:23
	v_mul_f32_e32 v32, v32, v35
	v_cvt_f32_f16_e32 v35, v75
	.loc	1 18 97                         ; attention_bwd.py:18:97
	s_wait_loadcnt 0x3b
	v_cvt_f32_f16_e32 v31, v124
	.loc	1 19 23                         ; attention_bwd.py:19:23
	v_mul_f32_e32 v33, v37, v33
	.loc	1 18 97                         ; attention_bwd.py:18:97
	s_wait_loadcnt 0x3a
	v_cvt_f32_f16_e32 v34, v122
.Ltmp73:
	.loc	2 293 36                        ; standard.py:293:36 @[ attention_bwd.py:19:19 ]
	v_mov_b32_dpp v30, v32 row_shr:8 row_mask:0xf bank_mask:0xf bound_ctrl:1
.Ltmp74:
	.loc	1 18 97                         ; attention_bwd.py:18:97
	s_wait_loadcnt 0x36
	v_cvt_f32_f16_e64 v37, v128
	.loc	1 19 23                         ; attention_bwd.py:19:23
	v_mul_f32_e32 v32, v35, v36
.Ltmp75:
	.loc	2 293 36                        ; standard.py:293:36 @[ attention_bwd.py:19:19 ]
	v_mov_b32_dpp v33, v33 row_shr:8 row_mask:0xf bank_mask:0xf bound_ctrl:1
.Ltmp76:
	.loc	1 19 23                         ; attention_bwd.py:19:23
	v_cvt_f32_f16_e32 v35, v72
.Ltmp77:
	.loc	2 263 15                        ; standard.py:263:15 @[ standard.py:293:36 @[ attention_bwd.py:19:19 ] ]
	v_fma_mix_f32 v76, v76, v126, v30 op_sel_hi:[1,1,0]
.Ltmp78:
	.loc	1 19 23                         ; attention_bwd.py:19:23
	v_mul_f32_e32 v37, v40, v37
.Ltmp79:
	.loc	2 293 36                        ; standard.py:293:36 @[ attention_bwd.py:19:19 ]
	v_mov_b32_dpp v32, v32 row_shr:8 row_mask:0xf bank_mask:0xf bound_ctrl:1
.Ltmp80:
	.loc	1 18 97                         ; attention_bwd.py:18:97
	v_cvt_f32_f16_e32 v30, v121
.Ltmp81:
	.loc	2 263 15                        ; standard.py:263:15 @[ standard.py:293:36 @[ attention_bwd.py:19:19 ] ]
	v_fma_mix_f32 v74, v77, v127, v33 op_sel_hi:[1,1,0]
.Ltmp82:
	.loc	1 18 97                         ; attention_bwd.py:18:97
	v_cvt_f32_f16_e32 v33, v119
	v_cvt_f32_f16_e64 v36, v129
.Ltmp83:
	.loc	2 263 15                        ; standard.py:263:15 @[ standard.py:293:36 @[ attention_bwd.py:19:19 ] ]
	v_fma_mix_f32 v73, v75, v125, v32 op_sel_hi:[1,1,0]
.Ltmp84:
	.loc	1 19 23                         ; attention_bwd.py:19:23
	v_cvt_f32_f16_e32 v32, v71
	v_mul_f32_e32 v31, v35, v31
	.loc	1 18 97                         ; attention_bwd.py:18:97
	s_wait_loadcnt 0x33
	v_cvt_f32_f16_e32 v38, v17
.Ltmp85:
	.loc	2 293 36                        ; standard.py:293:36 @[ attention_bwd.py:19:19 ]
	v_mov_b32_dpp v37, v37 row_shr:8 row_mask:0xf bank_mask:0xf bound_ctrl:1
.Ltmp86:
	.loc	1 18 97                         ; attention_bwd.py:18:97
	s_wait_loadcnt 0x2a
	v_cvt_f32_f16_e32 v47, v9
	.loc	1 19 23                         ; attention_bwd.py:19:23
	v_mul_f32_e32 v30, v32, v30
	v_cvt_f32_f16_e32 v32, v69
.Ltmp87:
	.loc	2 293 36                        ; standard.py:293:36 @[ attention_bwd.py:19:19 ]
	v_mov_b32_dpp v31, v31 row_shr:8 row_mask:0xf bank_mask:0xf bound_ctrl:1
.Ltmp88:
	.loc	1 19 23                         ; attention_bwd.py:19:23
	v_mul_f32_e32 v36, v39, v36
	.loc	1 18 97                         ; attention_bwd.py:18:97
	v_cvt_f32_f16_e32 v39, v12
	.loc	1 19 23                         ; attention_bwd.py:19:23
	v_cvt_f32_f16_e32 v35, v70
	v_mul_f32_e32 v32, v32, v33
	.loc	1 18 97                         ; attention_bwd.py:18:97
	v_cvt_f32_f16_e32 v33, v23
.Ltmp89:
	.loc	2 263 15                        ; standard.py:263:15 @[ standard.py:293:36 @[ attention_bwd.py:19:19 ] ]
	v_fma_mix_f32 v65, v72, v124, v31 op_sel_hi:[1,1,0]
.Ltmp90:
	.loc	1 18 97                         ; attention_bwd.py:18:97
	v_cvt_f32_f16_e32 v31, v16
.Ltmp91:
	.loc	2 293 36                        ; standard.py:293:36 @[ attention_bwd.py:19:19 ]
	v_mov_b32_dpp v30, v30 row_shr:8 row_mask:0xf bank_mask:0xf bound_ctrl:1
.Ltmp92:
	.loc	2 263 15                        ; standard.py:263:15 @[ standard.py:293:36 @[ attention_bwd.py:19:19 ] ]
	v_fma_mix_f32 v60, v67, v128, v37 op_sel_hi:[1,1,0]
.Ltmp93:
	.loc	1 19 23                         ; attention_bwd.py:19:23
	v_cvt_f32_f16_e32 v37, v4
	v_dual_mul_f32 v58, v42, v38 :: v_dual_mul_f32 v57, v43, v33
	s_wait_loadcnt 0x27
	v_cvt_f32_f16_e32 v33, v25
	s_delay_alu instid0(VALU_DEP_3) | instskip(SKIP_2) | instid1(VALU_DEP_4)
	v_dual_mul_f32 v34, v35, v34 :: v_dual_mul_f32 v59, v37, v31
.Ltmp94:
	.loc	2 263 15                        ; standard.py:263:15 @[ standard.py:293:36 @[ attention_bwd.py:19:19 ] ]
	v_fma_mix_f32 v63, v71, v121, v30 op_sel_hi:[1,1,0]
.Ltmp95:
	.loc	1 19 23                         ; attention_bwd.py:19:23
	v_cvt_f32_f16_e32 v37, v3
	v_mul_f32_e32 v45, v33, v39
.Ltmp96:
	.loc	2 293 36                        ; standard.py:293:36 @[ attention_bwd.py:19:19 ]
	v_mov_b32_dpp v30, v32 row_shr:8 row_mask:0xf bank_mask:0xf bound_ctrl:1
.Ltmp97:
	.loc	1 18 97                         ; attention_bwd.py:18:97
	v_cvt_f32_f16_e32 v32, v11
	v_cvt_f32_f16_e64 v35, v130
.Ltmp98:
	.loc	2 293 36                        ; standard.py:293:36 @[ attention_bwd.py:19:19 ]
	v_mov_b32_dpp v34, v34 row_shr:8 row_mask:0xf bank_mask:0xf bound_ctrl:1
.Ltmp99:
	.loc	1 18 97                         ; attention_bwd.py:18:97
	v_cvt_f32_f16_e32 v40, v14
.Ltmp100:
	.loc	2 263 15                        ; standard.py:263:15 @[ standard.py:293:36 @[ attention_bwd.py:19:19 ] ]
	v_fma_mix_f32 v61, v69, v119, v30 op_sel_hi:[1,1,0]
.Ltmp101:
	.loc	1 19 23                         ; attention_bwd.py:19:23
	v_cvt_f32_f16_e32 v30, v68
	v_mul_f32_e32 v46, v37, v32
	s_wait_loadcnt 0x25
	v_cvt_f32_f16_e32 v32, v27
.Ltmp102:
	.loc	2 263 15                        ; standard.py:263:15 @[ standard.py:293:36 @[ attention_bwd.py:19:19 ] ]
	v_fma_mix_f32 v64, v70, v122, v34 op_sel_hi:[1,1,0]
.Ltmp103:
	.loc	1 18 97                         ; attention_bwd.py:18:97
	v_cvt_f32_f16_e32 v34, v24
	.loc	1 19 23                         ; attention_bwd.py:19:23
	v_mul_f32_e32 v30, v30, v35
	.loc	1 18 97                         ; attention_bwd.py:18:97
	v_cvt_f32_f16_e32 v35, v15
	.loc	1 19 23                         ; attention_bwd.py:19:23
	v_cvt_f32_f16_e32 v31, v7
	s_wait_loadcnt 0x24
	v_cvt_f32_f16_e32 v33, v28
	v_mul_f32_e32 v43, v32, v40
	s_wait_loadcnt 0x22
	v_cvt_f32_f16_e32 v32, v20
	.loc	1 18 97                         ; attention_bwd.py:18:97
	v_cvt_f32_f16_e32 v41, v13
.Ltmp104:
	.loc	2 293 36                        ; standard.py:293:36 @[ attention_bwd.py:19:19 ]
	v_mov_b32_dpp v30, v30 row_shr:8 row_mask:0xf bank_mask:0xf bound_ctrl:1
.Ltmp105:
	.loc	1 19 23                         ; attention_bwd.py:19:23
	v_mul_f32_e32 v42, v33, v35
	.loc	1 18 97                         ; attention_bwd.py:18:97
	v_cvt_f32_f16_e32 v33, v18
	.loc	1 19 23                         ; attention_bwd.py:19:23
	v_mul_f32_e32 v56, v31, v34
	v_cvt_f32_f16_e32 v31, v26
	s_wait_loadcnt 0x20
	v_cvt_f32_f16_e32 v34, v22
	v_mul_f32_e32 v39, v32, v47
.Ltmp106:
	.loc	2 293 36                        ; standard.py:293:36 @[ attention_bwd.py:19:19 ]
	v_mov_b32_dpp v36, v36 row_shr:8 row_mask:0xf bank_mask:0xf bound_ctrl:1
.Ltmp107:
	.loc	1 18 97                         ; attention_bwd.py:18:97
	s_wait_loadcnt 0x1c
	v_cvt_f32_f16_e32 v32, v89
.Ltmp108:
	.loc	2 263 15                        ; standard.py:263:15 @[ standard.py:293:36 @[ attention_bwd.py:19:19 ] ]
	v_fma_mix_f32 v52, v68, v130, v30 op_sel_hi:[1,1,0]
.Ltmp109:
	.loc	1 19 23                         ; attention_bwd.py:19:23
	v_mul_f32_e32 v37, v34, v33
	s_wait_loadcnt 0x14
	v_cvt_f32_f16_e32 v33, v94
.Ltmp110:
	.loc	2 263 15                        ; standard.py:263:15 @[ standard.py:293:36 @[ attention_bwd.py:19:19 ] ]
	v_fma_mix_f32 v62, v66, v129, v36 op_sel_hi:[1,1,0]
.Ltmp111:
	.loc	1 18 97                         ; attention_bwd.py:18:97
	v_cvt_f32_f16_e32 v36, v8
	.loc	1 19 23                         ; attention_bwd.py:19:23
	v_mul_f32_e32 v44, v31, v41
	v_cvt_f32_f16_e32 v31, v19
	.loc	1 18 97                         ; attention_bwd.py:18:97
	v_cvt_f32_f16_e32 v30, v10
	v_cvt_f32_f16_e32 v41, v87
	.loc	1 19 23                         ; attention_bwd.py:19:23
	v_cvt_f32_f16_e32 v48, v92
	.loc	1 18 97                         ; attention_bwd.py:18:97
	;; [unrolled: 2-line block ×3, first 2 shown]
	s_wait_loadcnt 0x12
	v_cvt_f32_f16_e32 v49, v96
	.loc	1 18 97                         ; attention_bwd.py:18:97
	v_cvt_f32_f16_e32 v50, v83
	.loc	1 19 23                         ; attention_bwd.py:19:23
	s_wait_loadcnt 0x11
	v_cvt_f32_f16_e32 v51, v85
	v_mul_f32_e32 v34, v48, v41
	.loc	1 18 97                         ; attention_bwd.py:18:97
	v_cvt_f32_f16_e32 v48, v91
	v_cvt_f32_f16_e32 v41, v90
	.loc	1 19 23                         ; attention_bwd.py:19:23
	v_cvt_f32_f16_e32 v47, v95
	v_mul_f32_e32 v33, v33, v32
.Ltmp112:
	.loc	2 263 15                        ; standard.py:263:15 @[ standard.py:293:36 @[ attention_bwd.py:19:19 ] ]
	v_add_f32_dpp v61, v61, v61 row_shr:4 row_mask:0xf bank_mask:0xf bound_ctrl:1
.Ltmp113:
	.loc	2 293 36                        ; standard.py:293:36 @[ attention_bwd.py:19:19 ]
	v_mov_b32_dpp v59, v59 row_shr:8 row_mask:0xf bank_mask:0xf bound_ctrl:1
	v_mov_b32_dpp v58, v58 row_shr:8 row_mask:0xf bank_mask:0xf bound_ctrl:1
.Ltmp114:
	.loc	1 19 23                         ; attention_bwd.py:19:23
	v_mul_f32_e32 v32, v47, v41
	.loc	1 18 97                         ; attention_bwd.py:18:97
	v_cvt_f32_f16_e32 v41, v84
	.loc	1 19 23                         ; attention_bwd.py:19:23
	s_wait_loadcnt 0x10
	v_cvt_f32_f16_e32 v47, v86
.Ltmp115:
	.loc	2 263 15                        ; standard.py:263:15 @[ standard.py:293:36 @[ attention_bwd.py:19:19 ] ]
	v_add_f32_dpp v61, v61, v61 row_shr:2 row_mask:0xf bank_mask:0xf bound_ctrl:1
.Ltmp116:
	.loc	2 293 36                        ; standard.py:293:36 @[ attention_bwd.py:19:19 ]
	v_mov_b32_dpp v57, v57 row_shr:8 row_mask:0xf bank_mask:0xf bound_ctrl:1
.Ltmp117:
	.loc	2 263 15                        ; standard.py:263:15 @[ standard.py:293:36 @[ attention_bwd.py:19:19 ] ]
	v_fma_mix_f32 v4, v4, v16, v59 op_sel_hi:[1,1,0]
	v_fma_mix_f32 v5, v5, v17, v58 op_sel_hi:[1,1,0]
.Ltmp118:
	.loc	1 19 23                         ; attention_bwd.py:19:23
	v_mul_f32_e32 v55, v47, v41
	.loc	1 18 97                         ; attention_bwd.py:18:97
	s_wait_loadcnt 0xb
	v_cvt_f32_f16_e32 v53, v115
	.loc	1 19 23                         ; attention_bwd.py:19:23
	s_wait_loadcnt 0xa
	v_cvt_f32_f16_e32 v66, v116
	;; [unrolled: 3-line block ×4, first 2 shown]
	v_mul_f32_e32 v40, v31, v36
	v_cvt_f32_f16_e32 v31, v21
	v_cvt_f32_f16_e32 v36, v108
.Ltmp119:
	.loc	2 263 15                        ; standard.py:263:15 @[ standard.py:293:36 @[ attention_bwd.py:19:19 ] ]
	v_add_f32_dpp v61, v61, v61 row_shr:1 row_mask:0xf bank_mask:0xf bound_ctrl:1
.Ltmp120:
	.loc	1 19 23                         ; attention_bwd.py:19:23
	v_mul_f32_e32 v41, v68, v67
.Ltmp121:
	.loc	2 263 15                        ; standard.py:263:15 @[ standard.py:293:36 @[ attention_bwd.py:19:19 ] ]
	v_fma_mix_f32 v6, v6, v23, v57 op_sel_hi:[1,1,0]
.Ltmp122:
	.loc	1 19 23                         ; attention_bwd.py:19:23
	v_mul_f32_e32 v38, v31, v30
	.loc	1 18 97                         ; attention_bwd.py:18:97
	v_cvt_f32_f16_e32 v30, v88
	.loc	1 19 23                         ; attention_bwd.py:19:23
	v_cvt_f32_f16_e32 v31, v93
	v_mul_f32_e32 v36, v36, v35
	.loc	1 18 97                         ; attention_bwd.py:18:97
	s_wait_loadcnt 0x7
	v_cvt_f32_f16_e32 v47, v99
	s_wait_loadcnt 0x5
	v_cvt_f32_f16_e32 v67, v101
	.loc	1 19 23                         ; attention_bwd.py:19:23
	s_wait_loadcnt 0x4
	v_cvt_f32_f16_e32 v68, v102
	v_mul_f32_e32 v35, v31, v30
	v_mul_f32_e32 v30, v51, v50
	.loc	1 18 97                         ; attention_bwd.py:18:97
	v_cvt_f32_f16_e32 v50, v113
	.loc	1 19 23                         ; attention_bwd.py:19:23
	v_cvt_f32_f16_e32 v51, v114
	v_mul_f32_e32 v31, v49, v48
	.loc	1 18 97                         ; attention_bwd.py:18:97
	v_cvt_f32_f16_e32 v48, v111
	.loc	1 19 23                         ; attention_bwd.py:19:23
	v_cvt_f32_f16_e32 v49, v112
.Ltmp123:
	.loc	2 263 15                        ; standard.py:263:15 @[ standard.py:293:36 @[ attention_bwd.py:19:19 ] ]
	v_add_f32_dpp v4, v4, v4 row_shr:4 row_mask:0xf bank_mask:0xf bound_ctrl:1
.Ltmp124:
	.loc	1 19 23                         ; attention_bwd.py:19:23
	v_mul_f32_e32 v51, v51, v50
.Ltmp125:
	.loc	2 263 15                        ; standard.py:263:15 @[ standard.py:293:36 @[ attention_bwd.py:19:19 ] ]
	v_add_f32_dpp v50, v142, v142 row_shr:4 row_mask:0xf bank_mask:0xf bound_ctrl:1
	v_add_f32_dpp v5, v5, v5 row_shr:4 row_mask:0xf bank_mask:0xf bound_ctrl:1
.Ltmp126:
	.loc	1 19 23                         ; attention_bwd.py:19:23
	v_mul_f32_e32 v54, v49, v48
	v_mul_f32_e32 v48, v66, v53
.Ltmp127:
	.loc	2 263 15                        ; standard.py:263:15 @[ standard.py:293:36 @[ attention_bwd.py:19:19 ] ]
	v_add_f32_dpp v66, v144, v144 row_shr:4 row_mask:0xf bank_mask:0xf bound_ctrl:1
	v_add_f32_dpp v50, v50, v50 row_shr:2 row_mask:0xf bank_mask:0xf bound_ctrl:1
	;; [unrolled: 1-line block ×3, first 2 shown]
.Ltmp128:
	.loc	1 19 23                         ; attention_bwd.py:19:23
	v_cvt_f32_f16_e32 v49, v100
	.loc	1 18 97                         ; attention_bwd.py:18:97
	s_wait_loadcnt 0x1
	v_cvt_f32_f16_e32 v72, v106
.Ltmp129:
	.loc	2 263 15                        ; standard.py:263:15 @[ standard.py:293:36 @[ attention_bwd.py:19:19 ] ]
	v_add_f32_dpp v66, v66, v66 row_shr:2 row_mask:0xf bank_mask:0xf bound_ctrl:1
	v_add_f32_dpp v50, v50, v50 row_shr:1 row_mask:0xf bank_mask:0xf bound_ctrl:1
	;; [unrolled: 1-line block ×3, first 2 shown]
.Ltmp130:
	.loc	1 19 23                         ; attention_bwd.py:19:23
	v_mul_f32_e32 v49, v49, v47
	v_mul_f32_e32 v47, v68, v67
.Ltmp131:
	.loc	2 263 15                        ; standard.py:263:15 @[ standard.py:293:36 @[ attention_bwd.py:19:19 ] ]
	v_add_f32_dpp v66, v66, v66 row_shr:1 row_mask:0xf bank_mask:0xf bound_ctrl:1
.Ltmp132:
	.loc	2 293 36                        ; standard.py:293:36 @[ attention_bwd.py:19:19 ]
	v_permlanex16_b32 v69, v50, -1, -1 op_sel:[1,0]
.Ltmp133:
	.loc	2 263 15                        ; standard.py:263:15 @[ standard.py:293:36 @[ attention_bwd.py:19:19 ] ]
	v_add_f32_dpp v53, v53, v53 row_shr:1 row_mask:0xf bank_mask:0xf bound_ctrl:1
.Ltmp134:
	.loc	1 18 97                         ; attention_bwd.py:18:97
	v_cvt_f32_f16_e32 v67, v103
	.loc	1 19 23                         ; attention_bwd.py:19:23
	v_cvt_f32_f16_e32 v68, v104
.Ltmp135:
	.loc	2 293 36                        ; standard.py:293:36 @[ attention_bwd.py:19:19 ]
	v_permlanex16_b32 v71, v66, -1, -1 op_sel:[1,0]
.Ltmp136:
	.loc	2 263 15                        ; standard.py:263:15 @[ standard.py:293:36 @[ attention_bwd.py:19:19 ] ]
	v_add_f32_e32 v69, v50, v69
.Ltmp137:
	.loc	2 293 36                        ; standard.py:293:36 @[ attention_bwd.py:19:19 ]
	v_permlanex16_b32 v70, v53, -1, -1 op_sel:[1,0]
.Ltmp138:
	.loc	1 19 23                         ; attention_bwd.py:19:23
	s_wait_loadcnt 0x0
	v_cvt_f32_f16_e32 v75, v29
.Ltmp139:
	.loc	2 263 15                        ; standard.py:263:15 @[ standard.py:293:36 @[ attention_bwd.py:19:19 ] ]
	v_add_f32_dpp v6, v6, v6 row_shr:4 row_mask:0xf bank_mask:0xf bound_ctrl:1
	v_add_f32_dpp v4, v4, v4 row_shr:2 row_mask:0xf bank_mask:0xf bound_ctrl:1
.Ltmp140:
	.loc	2 293 36                        ; standard.py:293:36 @[ attention_bwd.py:19:19 ]
	v_readlane_b32 s20, v69, 31
.Ltmp141:
	.loc	2 263 15                        ; standard.py:263:15 @[ standard.py:293:36 @[ attention_bwd.py:19:19 ] ]
	v_add_f32_dpp v69, v148, v148 row_shr:4 row_mask:0xf bank_mask:0xf bound_ctrl:1
	v_dual_add_f32 v70, v53, v70 :: v_dual_mul_f32 v53, v68, v67
	v_add_f32_dpp v67, v146, v146 row_shr:4 row_mask:0xf bank_mask:0xf bound_ctrl:1
	v_add_f32_dpp v68, v147, v147 row_shr:4 row_mask:0xf bank_mask:0xf bound_ctrl:1
	s_delay_alu instid0(VALU_DEP_4)
	v_add_f32_dpp v69, v69, v69 row_shr:2 row_mask:0xf bank_mask:0xf bound_ctrl:1
	v_add_f32_dpp v5, v5, v5 row_shr:2 row_mask:0xf bank_mask:0xf bound_ctrl:1
	v_add_f32_dpp v6, v6, v6 row_shr:2 row_mask:0xf bank_mask:0xf bound_ctrl:1
	v_add_f32_dpp v67, v67, v67 row_shr:2 row_mask:0xf bank_mask:0xf bound_ctrl:1
	v_add_f32_dpp v68, v68, v68 row_shr:2 row_mask:0xf bank_mask:0xf bound_ctrl:1
	v_add_f32_dpp v69, v69, v69 row_shr:1 row_mask:0xf bank_mask:0xf bound_ctrl:1
.Ltmp142:
	.loc	2 293 36                        ; standard.py:293:36 @[ attention_bwd.py:19:19 ]
	v_mov_b32_dpp v56, v56 row_shr:8 row_mask:0xf bank_mask:0xf bound_ctrl:1
.Ltmp143:
	.loc	2 263 15                        ; standard.py:263:15 @[ standard.py:293:36 @[ attention_bwd.py:19:19 ] ]
	v_add_f32_dpp v4, v4, v4 row_shr:1 row_mask:0xf bank_mask:0xf bound_ctrl:1
	v_add_f32_dpp v67, v67, v67 row_shr:1 row_mask:0xf bank_mask:0xf bound_ctrl:1
	v_add_f32_dpp v68, v68, v68 row_shr:1 row_mask:0xf bank_mask:0xf bound_ctrl:1
.Ltmp144:
	.loc	2 293 36                        ; standard.py:293:36 @[ attention_bwd.py:19:19 ]
	v_permlanex16_b32 v77, v69, -1, -1 op_sel:[1,0]
.Ltmp145:
	.loc	2 263 15                        ; standard.py:263:15 @[ standard.py:293:36 @[ attention_bwd.py:19:19 ] ]
	v_add_f32_e32 v66, v66, v71
	v_add_f32_dpp v5, v5, v5 row_shr:1 row_mask:0xf bank_mask:0xf bound_ctrl:1
	v_add_f32_dpp v6, v6, v6 row_shr:1 row_mask:0xf bank_mask:0xf bound_ctrl:1
	;; [unrolled: 1-line block ×3, first 2 shown]
	v_add_f32_e32 v69, v69, v77
.Ltmp146:
	.loc	2 293 36                        ; standard.py:293:36 @[ attention_bwd.py:19:19 ]
	v_readlane_b32 s7, v66, 31
.Ltmp147:
	.loc	2 263 15                        ; standard.py:263:15 @[ standard.py:293:36 @[ attention_bwd.py:19:19 ] ]
	v_add_f32_dpp v66, v145, v145 row_shr:4 row_mask:0xf bank_mask:0xf bound_ctrl:1
	v_fma_mix_f32 v7, v7, v24, v56 op_sel_hi:[1,1,0]
	v_add_f32_dpp v16, v52, v52 row_shr:4 row_mask:0xf bank_mask:0xf bound_ctrl:1
.Ltmp148:
	.loc	2 293 36                        ; standard.py:293:36 @[ attention_bwd.py:19:19 ]
	v_readlane_b32 s14, v69, 31
.Ltmp149:
	.loc	2 263 15                        ; standard.py:263:15 @[ standard.py:293:36 @[ attention_bwd.py:19:19 ] ]
	v_add_f32_dpp v69, v140, v140 row_shr:4 row_mask:0xf bank_mask:0xf bound_ctrl:1
	v_add_f32_dpp v66, v66, v66 row_shr:2 row_mask:0xf bank_mask:0xf bound_ctrl:1
.Ltmp150:
	.loc	2 293 36                        ; standard.py:293:36 @[ attention_bwd.py:19:19 ]
	v_permlanex16_b32 v23, v4, -1, -1 op_sel:[1,0]
	v_permlanex16_b32 v24, v5, -1, -1 op_sel:[1,0]
	;; [unrolled: 1-line block ×3, first 2 shown]
.Ltmp151:
	.loc	2 263 15                        ; standard.py:263:15 @[ standard.py:293:36 @[ attention_bwd.py:19:19 ] ]
	v_add_f32_dpp v69, v69, v69 row_shr:2 row_mask:0xf bank_mask:0xf bound_ctrl:1
	v_add_f32_dpp v66, v66, v66 row_shr:1 row_mask:0xf bank_mask:0xf bound_ctrl:1
	v_add_f32_dpp v63, v63, v63 row_shr:2 row_mask:0xf bank_mask:0xf bound_ctrl:1
	v_dual_add_f32 v4, v4, v23 :: v_dual_add_f32 v5, v5, v24
	s_delay_alu instid0(VALU_DEP_4) | instskip(NEXT) | instid1(VALU_DEP_4)
	v_add_f32_dpp v69, v69, v69 row_shr:1 row_mask:0xf bank_mask:0xf bound_ctrl:1
.Ltmp152:
	.loc	2 293 36                        ; standard.py:293:36 @[ attention_bwd.py:19:19 ]
	v_permlanex16_b32 v71, v66, -1, -1 op_sel:[1,0]
.Ltmp153:
	.loc	2 263 15                        ; standard.py:263:15 @[ standard.py:293:36 @[ attention_bwd.py:19:19 ] ]
	v_add_f32_e32 v6, v6, v52
	v_add_f32_dpp v63, v63, v63 row_shr:1 row_mask:0xf bank_mask:0xf bound_ctrl:1
.Ltmp154:
	.loc	2 293 36                        ; standard.py:293:36 @[ attention_bwd.py:19:19 ]
	v_readlane_b32 s55, v4, 31
	v_permlanex16_b32 v77, v69, -1, -1 op_sel:[1,0]
.Ltmp155:
	.loc	1 19 23                         ; attention_bwd.py:19:23
	v_mul_f32_e32 v50, v75, v72
.Ltmp156:
	.loc	2 293 36                        ; standard.py:293:36 @[ attention_bwd.py:19:19 ]
	v_permlanex16_b32 v72, v67, -1, -1 op_sel:[1,0]
	v_permlanex16_b32 v75, v68, -1, -1 op_sel:[1,0]
	v_readlane_b32 s48, v5, 31
.Ltmp157:
	.loc	2 263 15                        ; standard.py:263:15 @[ standard.py:293:36 @[ attention_bwd.py:19:19 ] ]
	v_add_f32_e32 v69, v69, v77
.Ltmp158:
	.loc	2 293 36                        ; standard.py:293:36 @[ attention_bwd.py:19:19 ]
	v_readlane_b32 s47, v6, 31
.Ltmp159:
	.loc	2 263 15                        ; standard.py:263:15 @[ standard.py:293:36 @[ attention_bwd.py:19:19 ] ]
	v_add_f32_e32 v67, v67, v72
.Ltmp160:
	.loc	2 293 36                        ; standard.py:293:36 @[ attention_bwd.py:19:19 ]
	v_mov_b32_dpp v4, v46 row_shr:8 row_mask:0xf bank_mask:0xf bound_ctrl:1
	v_mov_b32_dpp v5, v45 row_shr:8 row_mask:0xf bank_mask:0xf bound_ctrl:1
	v_readlane_b32 s15, v69, 31
.Ltmp161:
	.loc	2 263 15                        ; standard.py:263:15 @[ standard.py:293:36 @[ attention_bwd.py:19:19 ] ]
	v_add_f32_dpp v69, v133, v133 row_shr:4 row_mask:0xf bank_mask:0xf bound_ctrl:1
.Ltmp162:
	.loc	2 293 36                        ; standard.py:293:36 @[ attention_bwd.py:19:19 ]
	v_readlane_b32 s22, v67, 31
.Ltmp163:
	.loc	2 263 15                        ; standard.py:263:15 @[ standard.py:293:36 @[ attention_bwd.py:19:19 ] ]
	v_add_f32_dpp v67, v139, v139 row_shr:4 row_mask:0xf bank_mask:0xf bound_ctrl:1
.Ltmp164:
	.loc	2 293 36                        ; standard.py:293:36 @[ attention_bwd.py:19:19 ]
	v_mov_b32_dpp v6, v44 row_shr:8 row_mask:0xf bank_mask:0xf bound_ctrl:1
.Ltmp165:
	.loc	2 263 15                        ; standard.py:263:15 @[ standard.py:293:36 @[ attention_bwd.py:19:19 ] ]
	v_fma_mix_f32 v3, v3, v11, v4 op_sel_hi:[1,1,0]
	v_add_f32_dpp v69, v69, v69 row_shr:2 row_mask:0xf bank_mask:0xf bound_ctrl:1
	v_fma_mix_f32 v4, v25, v12, v5 op_sel_hi:[1,1,0]
	v_add_f32_dpp v67, v67, v67 row_shr:2 row_mask:0xf bank_mask:0xf bound_ctrl:1
	;; [unrolled: 2-line block ×3, first 2 shown]
	v_add_f32_dpp v69, v69, v69 row_shr:1 row_mask:0xf bank_mask:0xf bound_ctrl:1
	v_add_f32_dpp v62, v62, v62 row_shr:4 row_mask:0xf bank_mask:0xf bound_ctrl:1
	;; [unrolled: 1-line block ×5, first 2 shown]
.Ltmp166:
	.loc	2 293 36                        ; standard.py:293:36 @[ attention_bwd.py:19:19 ]
	v_permlanex16_b32 v77, v69, -1, -1 op_sel:[1,0]
.Ltmp167:
	.loc	2 263 15                        ; standard.py:263:15 @[ standard.py:293:36 @[ attention_bwd.py:19:19 ] ]
	v_add_f32_e32 v68, v68, v75
.Ltmp168:
	.loc	2 293 36                        ; standard.py:293:36 @[ attention_bwd.py:19:19 ]
	v_permlanex16_b32 v72, v67, -1, -1 op_sel:[1,0]
.Ltmp169:
	.loc	2 263 15                        ; standard.py:263:15 @[ standard.py:293:36 @[ attention_bwd.py:19:19 ] ]
	v_add_f32_dpp v5, v5, v5 row_shr:2 row_mask:0xf bank_mask:0xf bound_ctrl:1
	v_add_f32_dpp v3, v3, v3 row_shr:1 row_mask:0xf bank_mask:0xf bound_ctrl:1
	v_add_f32_e32 v69, v69, v77
.Ltmp170:
	.loc	2 293 36                        ; standard.py:293:36 @[ attention_bwd.py:19:19 ]
	v_readlane_b32 s21, v68, 31
.Ltmp171:
	.loc	2 263 15                        ; standard.py:263:15 @[ standard.py:293:36 @[ attention_bwd.py:19:19 ] ]
	v_add_f32_e32 v67, v67, v72
.Ltmp172:
	.loc	2 293 36                        ; standard.py:293:36 @[ attention_bwd.py:19:19 ]
	v_readlane_b32 s19, v70, 31
.Ltmp173:
	.loc	2 263 15                        ; standard.py:263:15 @[ standard.py:293:36 @[ attention_bwd.py:19:19 ] ]
	v_add_f32_dpp v70, v149, v149 row_shr:4 row_mask:0xf bank_mask:0xf bound_ctrl:1
.Ltmp174:
	.loc	2 293 36                        ; standard.py:293:36 @[ attention_bwd.py:19:19 ]
	v_readlane_b32 s5, v69, 31
.Ltmp175:
	.loc	2 263 15                        ; standard.py:263:15 @[ standard.py:293:36 @[ attention_bwd.py:19:19 ] ]
	v_add_f32_dpp v69, v80, v80 row_shr:4 row_mask:0xf bank_mask:0xf bound_ctrl:1
.Ltmp176:
	.loc	2 293 36                        ; standard.py:293:36 @[ attention_bwd.py:19:19 ]
	v_readlane_b32 s23, v67, 31
.Ltmp177:
	.loc	2 263 15                        ; standard.py:263:15 @[ standard.py:293:36 @[ attention_bwd.py:19:19 ] ]
	v_add_f32_dpp v67, v135, v135 row_shr:4 row_mask:0xf bank_mask:0xf bound_ctrl:1
	v_add_f32_dpp v70, v70, v70 row_shr:2 row_mask:0xf bank_mask:0xf bound_ctrl:1
	v_add_f32_dpp v5, v5, v5 row_shr:1 row_mask:0xf bank_mask:0xf bound_ctrl:1
	v_add_f32_dpp v69, v69, v69 row_shr:2 row_mask:0xf bank_mask:0xf bound_ctrl:1
	v_add_f32_dpp v68, v141, v141 row_shr:4 row_mask:0xf bank_mask:0xf bound_ctrl:1
	v_add_f32_dpp v67, v67, v67 row_shr:2 row_mask:0xf bank_mask:0xf bound_ctrl:1
	v_add_f32_dpp v70, v70, v70 row_shr:1 row_mask:0xf bank_mask:0xf bound_ctrl:1
.Ltmp178:
	.loc	2 293 36                        ; standard.py:293:36 @[ attention_bwd.py:19:19 ]
	v_permlanex16_b32 v13, v5, -1, -1 op_sel:[1,0]
.Ltmp179:
	.loc	2 263 15                        ; standard.py:263:15 @[ standard.py:293:36 @[ attention_bwd.py:19:19 ] ]
	v_add_f32_dpp v69, v69, v69 row_shr:1 row_mask:0xf bank_mask:0xf bound_ctrl:1
	v_add_f32_dpp v68, v68, v68 row_shr:2 row_mask:0xf bank_mask:0xf bound_ctrl:1
	;; [unrolled: 1-line block ×3, first 2 shown]
.Ltmp180:
	.loc	2 293 36                        ; standard.py:293:36 @[ attention_bwd.py:19:19 ]
	v_permlanex16_b32 v109, v70, -1, -1 op_sel:[1,0]
.Ltmp181:
	.loc	2 263 15                        ; standard.py:263:15 @[ standard.py:293:36 @[ attention_bwd.py:19:19 ] ]
	v_add_f32_e32 v5, v5, v13
.Ltmp182:
	.loc	2 293 36                        ; standard.py:293:36 @[ attention_bwd.py:19:19 ]
	v_permlanex16_b32 v77, v69, -1, -1 op_sel:[1,0]
	v_permlanex16_b32 v11, v3, -1, -1 op_sel:[1,0]
	;; [unrolled: 1-line block ×3, first 2 shown]
.Ltmp183:
	.loc	2 263 15                        ; standard.py:263:15 @[ standard.py:293:36 @[ attention_bwd.py:19:19 ] ]
	v_add_f32_e32 v66, v66, v71
.Ltmp184:
	.loc	2 293 36                        ; standard.py:293:36 @[ attention_bwd.py:19:19 ]
	v_readlane_b32 s57, v5, 31
.Ltmp185:
	.loc	2 263 15                        ; standard.py:263:15 @[ standard.py:293:36 @[ attention_bwd.py:19:19 ] ]
	v_add_f32_e32 v69, v69, v77
.Ltmp186:
	.loc	2 293 36                        ; standard.py:293:36 @[ attention_bwd.py:19:19 ]
	v_mov_b32_dpp v5, v38 row_shr:8 row_mask:0xf bank_mask:0xf bound_ctrl:1
.Ltmp187:
	.loc	2 263 15                        ; standard.py:263:15 @[ standard.py:293:36 @[ attention_bwd.py:19:19 ] ]
	v_add_f32_e32 v67, v67, v72
.Ltmp188:
	.loc	2 293 36                        ; standard.py:293:36 @[ attention_bwd.py:19:19 ]
	v_readlane_b32 s27, v66, 31
.Ltmp189:
	.loc	2 263 15                        ; standard.py:263:15 @[ standard.py:293:36 @[ attention_bwd.py:19:19 ] ]
	v_add_f32_dpp v66, v137, v137 row_shr:4 row_mask:0xf bank_mask:0xf bound_ctrl:1
.Ltmp190:
	.loc	2 293 36                        ; standard.py:293:36 @[ attention_bwd.py:19:19 ]
	v_readlane_b32 s29, v69, 31
.Ltmp191:
	.loc	2 263 15                        ; standard.py:263:15 @[ standard.py:293:36 @[ attention_bwd.py:19:19 ] ]
	v_add_f32_dpp v69, v74, v74 row_shr:4 row_mask:0xf bank_mask:0xf bound_ctrl:1
.Ltmp192:
	.loc	2 293 36                        ; standard.py:293:36 @[ attention_bwd.py:19:19 ]
	v_readlane_b32 s18, v67, 31
.Ltmp193:
	.loc	2 263 15                        ; standard.py:263:15 @[ standard.py:293:36 @[ attention_bwd.py:19:19 ] ]
	v_add_f32_dpp v67, v105, v105 row_shr:4 row_mask:0xf bank_mask:0xf bound_ctrl:1
	v_add_f32_dpp v66, v66, v66 row_shr:2 row_mask:0xf bank_mask:0xf bound_ctrl:1
	;; [unrolled: 1-line block ×4, first 2 shown]
	v_add_f32_e32 v3, v3, v11
	v_add_f32_dpp v67, v67, v67 row_shr:2 row_mask:0xf bank_mask:0xf bound_ctrl:1
	v_add_f32_dpp v66, v66, v66 row_shr:1 row_mask:0xf bank_mask:0xf bound_ctrl:1
	v_fma_mix_f32 v5, v21, v10, v5 op_sel_hi:[1,1,0]
.Ltmp194:
	.loc	2 293 36                        ; standard.py:293:36 @[ attention_bwd.py:19:19 ]
	v_permlanex16_b32 v75, v68, -1, -1 op_sel:[1,0]
.Ltmp195:
	.loc	2 263 15                        ; standard.py:263:15 @[ standard.py:293:36 @[ attention_bwd.py:19:19 ] ]
	v_add_f32_dpp v69, v69, v69 row_shr:1 row_mask:0xf bank_mask:0xf bound_ctrl:1
	v_add_f32_dpp v67, v67, v67 row_shr:1 row_mask:0xf bank_mask:0xf bound_ctrl:1
.Ltmp196:
	.loc	2 293 36                        ; standard.py:293:36 @[ attention_bwd.py:19:19 ]
	v_permlanex16_b32 v71, v66, -1, -1 op_sel:[1,0]
	v_readlane_b32 s63, v3, 31
	v_mov_b32_dpp v3, v40 row_shr:8 row_mask:0xf bank_mask:0xf bound_ctrl:1
.Ltmp197:
	.loc	2 263 15                        ; standard.py:263:15 @[ standard.py:293:36 @[ attention_bwd.py:19:19 ] ]
	v_add_f32_dpp v5, v5, v5 row_shr:4 row_mask:0xf bank_mask:0xf bound_ctrl:1
.Ltmp198:
	.loc	2 293 36                        ; standard.py:293:36 @[ attention_bwd.py:19:19 ]
	v_permlanex16_b32 v72, v67, -1, -1 op_sel:[1,0]
.Ltmp199:
	.loc	2 263 15                        ; standard.py:263:15 @[ standard.py:293:36 @[ attention_bwd.py:19:19 ] ]
	v_add_f32_e32 v66, v66, v71
	v_add_f32_e32 v70, v70, v109
	v_add_f32_dpp v62, v62, v62 row_shr:2 row_mask:0xf bank_mask:0xf bound_ctrl:1
	v_fma_mix_f32 v3, v19, v8, v3 op_sel_hi:[1,1,0]
	v_add_f32_e32 v67, v67, v72
.Ltmp200:
	.loc	2 293 36                        ; standard.py:293:36 @[ attention_bwd.py:19:19 ]
	v_readlane_b32 s24, v66, 31
.Ltmp201:
	.loc	2 263 15                        ; standard.py:263:15 @[ standard.py:293:36 @[ attention_bwd.py:19:19 ] ]
	v_add_f32_dpp v66, v136, v136 row_shr:4 row_mask:0xf bank_mask:0xf bound_ctrl:1
.Ltmp202:
	.loc	2 293 36                        ; standard.py:293:36 @[ attention_bwd.py:19:19 ]
	v_readlane_b32 s8, v70, 31
.Ltmp203:
	.loc	2 263 15                        ; standard.py:263:15 @[ standard.py:293:36 @[ attention_bwd.py:19:19 ] ]
	v_add_f32_dpp v70, v138, v138 row_shr:4 row_mask:0xf bank_mask:0xf bound_ctrl:1
.Ltmp204:
	.loc	2 293 36                        ; standard.py:293:36 @[ attention_bwd.py:19:19 ]
	v_readlane_b32 s30, v67, 31
.Ltmp205:
	.loc	2 263 15                        ; standard.py:263:15 @[ standard.py:293:36 @[ attention_bwd.py:19:19 ] ]
	v_add_f32_dpp v67, v78, v78 row_shr:4 row_mask:0xf bank_mask:0xf bound_ctrl:1
	v_add_f32_dpp v66, v66, v66 row_shr:2 row_mask:0xf bank_mask:0xf bound_ctrl:1
	;; [unrolled: 1-line block ×11, first 2 shown]
.Ltmp206:
	.loc	2 293 36                        ; standard.py:293:36 @[ attention_bwd.py:19:19 ]
	v_permlanex16_b32 v71, v66, -1, -1 op_sel:[1,0]
.Ltmp207:
	.loc	2 263 15                        ; standard.py:263:15 @[ standard.py:293:36 @[ attention_bwd.py:19:19 ] ]
	v_add_f32_dpp v5, v5, v5 row_shr:1 row_mask:0xf bank_mask:0xf bound_ctrl:1
.Ltmp208:
	.loc	2 293 36                        ; standard.py:293:36 @[ attention_bwd.py:19:19 ]
	v_permlanex16_b32 v109, v70, -1, -1 op_sel:[1,0]
.Ltmp209:
	.loc	2 263 15                        ; standard.py:263:15 @[ standard.py:293:36 @[ attention_bwd.py:19:19 ] ]
	v_add_f32_dpp v65, v65, v65 row_shr:4 row_mask:0xf bank_mask:0xf bound_ctrl:1
	v_add_f32_dpp v3, v3, v3 row_shr:2 row_mask:0xf bank_mask:0xf bound_ctrl:1
	v_add_f32_e32 v66, v66, v71
.Ltmp210:
	.loc	2 293 36                        ; standard.py:293:36 @[ attention_bwd.py:19:19 ]
	v_permlanex16_b32 v10, v5, -1, -1 op_sel:[1,0]
.Ltmp211:
	.loc	2 263 15                        ; standard.py:263:15 @[ standard.py:293:36 @[ attention_bwd.py:19:19 ] ]
	v_add_f32_e32 v70, v70, v109
	v_add_f32_dpp v65, v65, v65 row_shr:2 row_mask:0xf bank_mask:0xf bound_ctrl:1
	v_add_f32_dpp v3, v3, v3 row_shr:1 row_mask:0xf bank_mask:0xf bound_ctrl:1
.Ltmp212:
	.loc	2 293 36                        ; standard.py:293:36 @[ attention_bwd.py:19:19 ]
	v_readlane_b32 s25, v66, 31
.Ltmp213:
	.loc	2 263 15                        ; standard.py:263:15 @[ standard.py:293:36 @[ attention_bwd.py:19:19 ] ]
	v_add_f32_dpp v66, v131, v131 row_shr:4 row_mask:0xf bank_mask:0xf bound_ctrl:1
.Ltmp214:
	.loc	2 293 36                        ; standard.py:293:36 @[ attention_bwd.py:19:19 ]
	v_readlane_b32 s4, v70, 31
.Ltmp215:
	.loc	2 263 15                        ; standard.py:263:15 @[ standard.py:293:36 @[ attention_bwd.py:19:19 ] ]
	v_add_f32_dpp v70, v132, v132 row_shr:4 row_mask:0xf bank_mask:0xf bound_ctrl:1
	v_add_f32_e32 v5, v5, v10
	v_add_f32_dpp v65, v65, v65 row_shr:1 row_mask:0xf bank_mask:0xf bound_ctrl:1
	v_add_f32_dpp v66, v66, v66 row_shr:2 row_mask:0xf bank_mask:0xf bound_ctrl:1
.Ltmp216:
	.loc	2 293 36                        ; standard.py:293:36 @[ attention_bwd.py:19:19 ]
	v_permlanex16_b32 v8, v3, -1, -1 op_sel:[1,0]
.Ltmp217:
	.loc	2 263 15                        ; standard.py:263:15 @[ standard.py:293:36 @[ attention_bwd.py:19:19 ] ]
	v_add_f32_dpp v70, v70, v70 row_shr:2 row_mask:0xf bank_mask:0xf bound_ctrl:1
.Ltmp218:
	.loc	2 293 36                        ; standard.py:293:36 @[ attention_bwd.py:19:19 ]
	v_readlane_b32 s60, v5, 31
	v_mov_b32_dpp v5, v33 row_shr:8 row_mask:0xf bank_mask:0xf bound_ctrl:1
.Ltmp219:
	.loc	2 263 15                        ; standard.py:263:15 @[ standard.py:293:36 @[ attention_bwd.py:19:19 ] ]
	v_add_f32_dpp v66, v66, v66 row_shr:1 row_mask:0xf bank_mask:0xf bound_ctrl:1
	v_add_f32_e32 v3, v3, v8
	v_add_f32_dpp v70, v70, v70 row_shr:1 row_mask:0xf bank_mask:0xf bound_ctrl:1
	v_add_f32_dpp v7, v7, v7 row_shr:4 row_mask:0xf bank_mask:0xf bound_ctrl:1
	v_fma_mix_f32 v5, v94, v89, v5 op_sel_hi:[1,1,0]
.Ltmp220:
	.loc	2 293 36                        ; standard.py:293:36 @[ attention_bwd.py:19:19 ]
	v_permlanex16_b32 v71, v66, -1, -1 op_sel:[1,0]
.Ltmp221:
	.loc	2 263 15                        ; standard.py:263:15 @[ standard.py:293:36 @[ attention_bwd.py:19:19 ] ]
	v_add_f32_dpp v16, v16, v16 row_shr:2 row_mask:0xf bank_mask:0xf bound_ctrl:1
.Ltmp222:
	.loc	2 293 36                        ; standard.py:293:36 @[ attention_bwd.py:19:19 ]
	v_permlanex16_b32 v109, v70, -1, -1 op_sel:[1,0]
.Ltmp223:
	.loc	2 263 15                        ; standard.py:263:15 @[ standard.py:293:36 @[ attention_bwd.py:19:19 ] ]
	v_add_f32_dpp v7, v7, v7 row_shr:2 row_mask:0xf bank_mask:0xf bound_ctrl:1
	v_add_f32_dpp v5, v5, v5 row_shr:4 row_mask:0xf bank_mask:0xf bound_ctrl:1
	v_add_f32_e32 v66, v66, v71
	v_add_f32_dpp v16, v16, v16 row_shr:1 row_mask:0xf bank_mask:0xf bound_ctrl:1
	v_add_f32_e32 v70, v70, v109
	v_add_f32_dpp v7, v7, v7 row_shr:1 row_mask:0xf bank_mask:0xf bound_ctrl:1
	v_add_f32_dpp v5, v5, v5 row_shr:2 row_mask:0xf bank_mask:0xf bound_ctrl:1
.Ltmp224:
	.loc	2 293 36                        ; standard.py:293:36 @[ attention_bwd.py:19:19 ]
	v_readlane_b32 s31, v66, 31
.Ltmp225:
	.loc	2 263 15                        ; standard.py:263:15 @[ standard.py:293:36 @[ attention_bwd.py:19:19 ] ]
	v_add_f32_dpp v66, v72, v72 row_shr:2 row_mask:0xf bank_mask:0xf bound_ctrl:1
.Ltmp226:
	.loc	2 293 36                        ; standard.py:293:36 @[ attention_bwd.py:19:19 ]
	v_readlane_b32 s6, v70, 31
.Ltmp227:
	.loc	2 263 15                        ; standard.py:263:15 @[ standard.py:293:36 @[ attention_bwd.py:19:19 ] ]
	v_add_f32_dpp v70, v81, v81 row_shr:4 row_mask:0xf bank_mask:0xf bound_ctrl:1
	v_add_f32_dpp v5, v5, v5 row_shr:1 row_mask:0xf bank_mask:0xf bound_ctrl:1
.Ltmp228:
	.loc	2 293 36                        ; standard.py:293:36 @[ attention_bwd.py:19:19 ]
	v_permlanex16_b32 v17, v16, -1, -1 op_sel:[1,0]
.Ltmp229:
	.loc	2 263 15                        ; standard.py:263:15 @[ standard.py:293:36 @[ attention_bwd.py:19:19 ] ]
	v_add_f32_dpp v66, v66, v66 row_shr:1 row_mask:0xf bank_mask:0xf bound_ctrl:1
.Ltmp230:
	.loc	2 293 36                        ; standard.py:293:36 @[ attention_bwd.py:19:19 ]
	v_permlanex16_b32 v56, v7, -1, -1 op_sel:[1,0]
.Ltmp231:
	.loc	2 263 15                        ; standard.py:263:15 @[ standard.py:293:36 @[ attention_bwd.py:19:19 ] ]
	v_add_f32_dpp v70, v70, v70 row_shr:2 row_mask:0xf bank_mask:0xf bound_ctrl:1
.Ltmp232:
	.loc	2 293 36                        ; standard.py:293:36 @[ attention_bwd.py:19:19 ]
	v_permlanex16_b32 v10, v5, -1, -1 op_sel:[1,0]
.Ltmp233:
	.loc	2 263 15                        ; standard.py:263:15 @[ standard.py:293:36 @[ attention_bwd.py:19:19 ] ]
	v_add_f32_e32 v16, v16, v17
.Ltmp234:
	.loc	2 293 36                        ; standard.py:293:36 @[ attention_bwd.py:19:19 ]
	v_readlane_b32 s66, v3, 31
.Ltmp235:
	.loc	2 263 15                        ; standard.py:263:15 @[ standard.py:293:36 @[ attention_bwd.py:19:19 ] ]
	v_add_f32_e32 v7, v7, v56
	v_add_f32_dpp v70, v70, v70 row_shr:1 row_mask:0xf bank_mask:0xf bound_ctrl:1
	v_add_f32_e32 v5, v5, v10
.Ltmp236:
	.loc	2 293 36                        ; standard.py:293:36 @[ attention_bwd.py:19:19 ]
	v_readlane_b32 s56, v16, 31
	v_mov_b32_dpp v16, v42 row_shr:8 row_mask:0xf bank_mask:0xf bound_ctrl:1
	v_readlane_b32 s40, v7, 31
	v_permlanex16_b32 v71, v70, -1, -1 op_sel:[1,0]
	v_mov_b32_dpp v7, v43 row_shr:8 row_mask:0xf bank_mask:0xf bound_ctrl:1
	v_readlane_b32 s67, v5, 31
	v_mov_b32_dpp v5, v54 row_shr:8 row_mask:0xf bank_mask:0xf bound_ctrl:1
	v_mov_b32_dpp v3, v34 row_shr:8 row_mask:0xf bank_mask:0xf bound_ctrl:1
.Ltmp237:
	.loc	2 263 15                        ; standard.py:263:15 @[ standard.py:293:36 @[ attention_bwd.py:19:19 ] ]
	v_add_f32_e32 v70, v70, v71
.Ltmp238:
	.loc	2 293 36                        ; standard.py:293:36 @[ attention_bwd.py:19:19 ]
	v_permlanex16_b32 v71, v66, -1, -1 op_sel:[1,0]
.Ltmp239:
	.loc	2 263 15                        ; standard.py:263:15 @[ standard.py:293:36 @[ attention_bwd.py:19:19 ] ]
	v_fma_mix_f32 v6, v27, v14, v7 op_sel_hi:[1,1,0]
	v_fma_mix_f32 v7, v28, v15, v16 op_sel_hi:[1,1,0]
	;; [unrolled: 1-line block ×3, first 2 shown]
.Ltmp240:
	.loc	2 293 36                        ; standard.py:293:36 @[ attention_bwd.py:19:19 ]
	v_readlane_b32 s26, v70, 31
.Ltmp241:
	.loc	2 263 15                        ; standard.py:263:15 @[ standard.py:293:36 @[ attention_bwd.py:19:19 ] ]
	v_add_f32_dpp v70, v73, v73 row_shr:4 row_mask:0xf bank_mask:0xf bound_ctrl:1
.Ltmp242:
	.loc	2 293 36                        ; standard.py:293:36 @[ attention_bwd.py:19:19 ]
	v_permlanex16_b32 v73, v69, -1, -1 op_sel:[1,0]
.Ltmp243:
	.loc	2 263 15                        ; standard.py:263:15 @[ standard.py:293:36 @[ attention_bwd.py:19:19 ] ]
	v_add_f32_e32 v68, v68, v75
	v_add_f32_e32 v66, v66, v71
	v_add_f32_dpp v7, v7, v7 row_shr:4 row_mask:0xf bank_mask:0xf bound_ctrl:1
	v_add_f32_dpp v70, v70, v70 row_shr:2 row_mask:0xf bank_mask:0xf bound_ctrl:1
	v_add_f32_e32 v69, v69, v73
.Ltmp244:
	.loc	2 293 36                        ; standard.py:293:36 @[ attention_bwd.py:19:19 ]
	v_readlane_b32 s16, v68, 31
.Ltmp245:
	.loc	2 263 15                        ; standard.py:263:15 @[ standard.py:293:36 @[ attention_bwd.py:19:19 ] ]
	v_add_f32_dpp v68, v134, v134 row_shr:4 row_mask:0xf bank_mask:0xf bound_ctrl:1
.Ltmp246:
	.loc	2 293 36                        ; standard.py:293:36 @[ attention_bwd.py:19:19 ]
	v_readlane_b32 s38, v66, 31
.Ltmp247:
	.loc	2 263 15                        ; standard.py:263:15 @[ standard.py:293:36 @[ attention_bwd.py:19:19 ] ]
	v_add_f32_dpp v70, v70, v70 row_shr:1 row_mask:0xf bank_mask:0xf bound_ctrl:1
.Ltmp248:
	.loc	2 293 36                        ; standard.py:293:36 @[ attention_bwd.py:19:19 ]
	v_readlane_b32 s35, v69, 31
	v_permlanex16_b32 v69, v62, -1, -1 op_sel:[1,0]
.Ltmp249:
	.loc	2 263 15                        ; standard.py:263:15 @[ standard.py:293:36 @[ attention_bwd.py:19:19 ] ]
	v_add_f32_dpp v68, v68, v68 row_shr:2 row_mask:0xf bank_mask:0xf bound_ctrl:1
.Ltmp250:
	.loc	2 293 36                        ; standard.py:293:36 @[ attention_bwd.py:19:19 ]
	v_permlanex16_b32 v66, v65, -1, -1 op_sel:[1,0]
	v_permlanex16_b32 v74, v70, -1, -1 op_sel:[1,0]
.Ltmp251:
	.loc	2 263 15                        ; standard.py:263:15 @[ standard.py:293:36 @[ attention_bwd.py:19:19 ] ]
	v_add_f32_dpp v5, v5, v5 row_shr:4 row_mask:0xf bank_mask:0xf bound_ctrl:1
	v_add_f32_e32 v62, v62, v69
	v_add_f32_dpp v68, v68, v68 row_shr:1 row_mask:0xf bank_mask:0xf bound_ctrl:1
	v_add_f32_e32 v65, v65, v66
	v_add_f32_e32 v70, v70, v74
	v_add_f32_dpp v7, v7, v7 row_shr:2 row_mask:0xf bank_mask:0xf bound_ctrl:1
	v_add_f32_dpp v5, v5, v5 row_shr:2 row_mask:0xf bank_mask:0xf bound_ctrl:1
.Ltmp252:
	.loc	2 293 36                        ; standard.py:293:36 @[ attention_bwd.py:19:19 ]
	v_permlanex16_b32 v75, v68, -1, -1 op_sel:[1,0]
.Ltmp253:
	.loc	2 263 15                        ; standard.py:263:15 @[ standard.py:293:36 @[ attention_bwd.py:19:19 ] ]
	v_add_f32_dpp v4, v4, v4 row_shr:4 row_mask:0xf bank_mask:0xf bound_ctrl:1
	v_fma_mix_f32 v3, v92, v87, v3 op_sel_hi:[1,1,0]
	v_add_f32_dpp v7, v7, v7 row_shr:1 row_mask:0xf bank_mask:0xf bound_ctrl:1
	v_add_f32_dpp v5, v5, v5 row_shr:1 row_mask:0xf bank_mask:0xf bound_ctrl:1
	v_add_f32_e32 v68, v68, v75
	v_add_f32_dpp v64, v64, v64 row_shr:4 row_mask:0xf bank_mask:0xf bound_ctrl:1
	v_add_f32_dpp v60, v60, v60 row_shr:4 row_mask:0xf bank_mask:0xf bound_ctrl:1
.Ltmp254:
	.loc	2 293 36                        ; standard.py:293:36 @[ attention_bwd.py:19:19 ]
	v_permlanex16_b32 v15, v7, -1, -1 op_sel:[1,0]
	v_permlanex16_b32 v10, v5, -1, -1 op_sel:[1,0]
	v_readlane_b32 s17, v68, 31
.Ltmp255:
	.loc	2 263 15                        ; standard.py:263:15 @[ standard.py:293:36 @[ attention_bwd.py:19:19 ] ]
	v_add_f32_dpp v68, v82, v82 row_shr:4 row_mask:0xf bank_mask:0xf bound_ctrl:1
	v_add_f32_dpp v4, v4, v4 row_shr:2 row_mask:0xf bank_mask:0xf bound_ctrl:1
	v_add_f32_e32 v7, v7, v15
	v_add_f32_e32 v5, v5, v10
	v_add_f32_dpp v3, v3, v3 row_shr:4 row_mask:0xf bank_mask:0xf bound_ctrl:1
	v_add_f32_dpp v68, v68, v68 row_shr:2 row_mask:0xf bank_mask:0xf bound_ctrl:1
	;; [unrolled: 1-line block ×3, first 2 shown]
.Ltmp256:
	.loc	2 293 36                        ; standard.py:293:36 @[ attention_bwd.py:19:19 ]
	v_readlane_b32 s49, v7, 31
	v_mov_b32_dpp v7, v36 row_shr:8 row_mask:0xf bank_mask:0xf bound_ctrl:1
	v_readlane_b32 s70, v5, 31
.Ltmp257:
	.loc	2 263 15                        ; standard.py:263:15 @[ standard.py:293:36 @[ attention_bwd.py:19:19 ] ]
	v_add_f32_dpp v68, v68, v68 row_shr:1 row_mask:0xf bank_mask:0xf bound_ctrl:1
.Ltmp258:
	.loc	2 293 36                        ; standard.py:293:36 @[ attention_bwd.py:19:19 ]
	v_mov_b32_dpp v5, v47 row_shr:8 row_mask:0xf bank_mask:0xf bound_ctrl:1
.Ltmp259:
	.loc	2 263 15                        ; standard.py:263:15 @[ standard.py:293:36 @[ attention_bwd.py:19:19 ] ]
	v_add_f32_dpp v60, v60, v60 row_shr:2 row_mask:0xf bank_mask:0xf bound_ctrl:1
	v_fma_mix_f32 v7, v108, v107, v7 op_sel_hi:[1,1,0]
	v_add_f32_dpp v4, v4, v4 row_shr:1 row_mask:0xf bank_mask:0xf bound_ctrl:1
.Ltmp260:
	.loc	2 293 36                        ; standard.py:293:36 @[ attention_bwd.py:19:19 ]
	v_permlanex16_b32 v75, v68, -1, -1 op_sel:[1,0]
.Ltmp261:
	.loc	2 263 15                        ; standard.py:263:15 @[ standard.py:293:36 @[ attention_bwd.py:19:19 ] ]
	v_fma_mix_f32 v5, v102, v101, v5 op_sel_hi:[1,1,0]
	v_add_f32_dpp v3, v3, v3 row_shr:2 row_mask:0xf bank_mask:0xf bound_ctrl:1
	v_add_f32_dpp v7, v7, v7 row_shr:4 row_mask:0xf bank_mask:0xf bound_ctrl:1
	;; [unrolled: 1-line block ×3, first 2 shown]
	v_add_f32_e32 v68, v68, v75
	v_add_f32_dpp v5, v5, v5 row_shr:4 row_mask:0xf bank_mask:0xf bound_ctrl:1
	v_add_f32_dpp v60, v60, v60 row_shr:1 row_mask:0xf bank_mask:0xf bound_ctrl:1
	;; [unrolled: 1-line block ×3, first 2 shown]
.Ltmp262:
	.loc	2 293 36                        ; standard.py:293:36 @[ attention_bwd.py:19:19 ]
	v_permlanex16_b32 v12, v4, -1, -1 op_sel:[1,0]
	v_readlane_b32 s28, v68, 31
.Ltmp263:
	.loc	2 263 15                        ; standard.py:263:15 @[ standard.py:293:36 @[ attention_bwd.py:19:19 ] ]
	v_add_f32_dpp v68, v76, v76 row_shr:4 row_mask:0xf bank_mask:0xf bound_ctrl:1
	v_add_f32_dpp v5, v5, v5 row_shr:2 row_mask:0xf bank_mask:0xf bound_ctrl:1
	;; [unrolled: 1-line block ×4, first 2 shown]
.Ltmp264:
	.loc	2 293 36                        ; standard.py:293:36 @[ attention_bwd.py:19:19 ]
	v_permlanex16_b32 v66, v64, -1, -1 op_sel:[1,0]
.Ltmp265:
	.loc	2 263 15                        ; standard.py:263:15 @[ standard.py:293:36 @[ attention_bwd.py:19:19 ] ]
	v_add_f32_dpp v68, v68, v68 row_shr:2 row_mask:0xf bank_mask:0xf bound_ctrl:1
	v_add_f32_dpp v5, v5, v5 row_shr:1 row_mask:0xf bank_mask:0xf bound_ctrl:1
.Ltmp266:
	.loc	2 293 36                        ; standard.py:293:36 @[ attention_bwd.py:19:19 ]
	v_readlane_b32 s50, v65, 31
	v_permlanex16_b32 v65, v60, -1, -1 op_sel:[1,0]
	v_permlanex16_b32 v8, v3, -1, -1 op_sel:[1,0]
.Ltmp267:
	.loc	2 263 15                        ; standard.py:263:15 @[ standard.py:293:36 @[ attention_bwd.py:19:19 ] ]
	v_add_f32_dpp v68, v68, v68 row_shr:1 row_mask:0xf bank_mask:0xf bound_ctrl:1
.Ltmp268:
	.loc	2 293 36                        ; standard.py:293:36 @[ attention_bwd.py:19:19 ]
	v_permlanex16_b32 v10, v5, -1, -1 op_sel:[1,0]
.Ltmp269:
	.loc	2 263 15                        ; standard.py:263:15 @[ standard.py:293:36 @[ attention_bwd.py:19:19 ] ]
	v_add_f32_e32 v4, v4, v12
.Ltmp270:
	.loc	2 293 36                        ; standard.py:293:36 @[ attention_bwd.py:19:19 ]
	v_permlanex16_b32 v12, v7, -1, -1 op_sel:[1,0]
.Ltmp271:
	.loc	2 263 15                        ; standard.py:263:15 @[ standard.py:293:36 @[ attention_bwd.py:19:19 ] ]
	v_add_f32_e32 v64, v64, v66
.Ltmp272:
	.loc	2 293 36                        ; standard.py:293:36 @[ attention_bwd.py:19:19 ]
	v_permlanex16_b32 v72, v68, -1, -1 op_sel:[1,0]
.Ltmp273:
	.loc	2 263 15                        ; standard.py:263:15 @[ standard.py:293:36 @[ attention_bwd.py:19:19 ] ]
	v_dual_add_f32 v60, v60, v65 :: v_dual_add_f32 v3, v3, v8
	s_delay_alu instid0(VALU_DEP_4) | instskip(SKIP_1) | instid1(VALU_DEP_4)
	v_add_f32_e32 v7, v7, v12
	v_add_f32_dpp v6, v6, v6 row_shr:4 row_mask:0xf bank_mask:0xf bound_ctrl:1
	v_dual_add_f32 v68, v68, v72 :: v_dual_add_f32 v5, v5, v10
	s_delay_alu instid0(VALU_DEP_4) | instskip(NEXT) | instid1(VALU_DEP_4)
.Ltmp274:
	.loc	2 293 36                        ; standard.py:293:36 @[ attention_bwd.py:19:19 ]
	v_readlane_b32 s71, v3, 31
	v_readlane_b32 s54, v7, 31
	v_mov_b32_dpp v7, v31 row_shr:8 row_mask:0xf bank_mask:0xf bound_ctrl:1
	v_mov_b32_dpp v3, v30 row_shr:8 row_mask:0xf bank_mask:0xf bound_ctrl:1
.Ltmp275:
	.loc	2 263 15                        ; standard.py:263:15 @[ standard.py:293:36 @[ attention_bwd.py:19:19 ] ]
	v_add_f32_dpp v6, v6, v6 row_shr:2 row_mask:0xf bank_mask:0xf bound_ctrl:1
.Ltmp276:
	.loc	2 293 36                        ; standard.py:293:36 @[ attention_bwd.py:19:19 ]
	v_readlane_b32 s58, v4, 31
	v_mov_b32_dpp v4, v39 row_shr:8 row_mask:0xf bank_mask:0xf bound_ctrl:1
.Ltmp277:
	.loc	2 263 15                        ; standard.py:263:15 @[ standard.py:293:36 @[ attention_bwd.py:19:19 ] ]
	v_fma_mix_f32 v7, v96, v91, v7 op_sel_hi:[1,1,0]
	v_fma_mix_f32 v3, v85, v83, v3 op_sel_hi:[1,1,0]
	v_add_f32_dpp v6, v6, v6 row_shr:1 row_mask:0xf bank_mask:0xf bound_ctrl:1
.Ltmp278:
	.loc	2 293 36                        ; standard.py:293:36 @[ attention_bwd.py:19:19 ]
	v_permlanex16_b32 v71, v67, -1, -1 op_sel:[1,0]
.Ltmp279:
	.loc	2 263 15                        ; standard.py:263:15 @[ standard.py:293:36 @[ attention_bwd.py:19:19 ] ]
	v_fma_mix_f32 v4, v20, v9, v4 op_sel_hi:[1,1,0]
	v_add_f32_dpp v7, v7, v7 row_shr:4 row_mask:0xf bank_mask:0xf bound_ctrl:1
	v_add_f32_dpp v3, v3, v3 row_shr:4 row_mask:0xf bank_mask:0xf bound_ctrl:1
.Ltmp280:
	.loc	2 293 36                        ; standard.py:293:36 @[ attention_bwd.py:19:19 ]
	v_permlanex16_b32 v14, v6, -1, -1 op_sel:[1,0]
.Ltmp281:
	.loc	2 263 15                        ; standard.py:263:15 @[ standard.py:293:36 @[ attention_bwd.py:19:19 ] ]
	v_add_f32_e32 v67, v67, v71
	v_add_f32_dpp v4, v4, v4 row_shr:4 row_mask:0xf bank_mask:0xf bound_ctrl:1
	v_add_f32_dpp v7, v7, v7 row_shr:2 row_mask:0xf bank_mask:0xf bound_ctrl:1
	;; [unrolled: 1-line block ×3, first 2 shown]
.Ltmp282:
	.loc	2 293 36                        ; standard.py:293:36 @[ attention_bwd.py:19:19 ]
	v_readlane_b32 s37, v68, 31
	v_readlane_b32 s36, v67, 31
.Ltmp283:
	.loc	2 263 15                        ; standard.py:263:15 @[ standard.py:293:36 @[ attention_bwd.py:19:19 ] ]
	v_add_f32_dpp v4, v4, v4 row_shr:2 row_mask:0xf bank_mask:0xf bound_ctrl:1
	v_add_f32_dpp v7, v7, v7 row_shr:1 row_mask:0xf bank_mask:0xf bound_ctrl:1
	;; [unrolled: 1-line block ×3, first 2 shown]
.Ltmp284:
	.loc	2 293 36                        ; standard.py:293:36 @[ attention_bwd.py:19:19 ]
	v_permlanex16_b32 v67, v63, -1, -1 op_sel:[1,0]
	v_permlanex16_b32 v68, v61, -1, -1 op_sel:[1,0]
.Ltmp285:
	.loc	2 263 15                        ; standard.py:263:15 @[ standard.py:293:36 @[ attention_bwd.py:19:19 ] ]
	v_add_f32_dpp v4, v4, v4 row_shr:1 row_mask:0xf bank_mask:0xf bound_ctrl:1
.Ltmp286:
	.loc	2 293 36                        ; standard.py:293:36 @[ attention_bwd.py:19:19 ]
	v_permlanex16_b32 v12, v7, -1, -1 op_sel:[1,0]
	v_permlanex16_b32 v8, v3, -1, -1 op_sel:[1,0]
.Ltmp287:
	.loc	2 263 15                        ; standard.py:263:15 @[ standard.py:293:36 @[ attention_bwd.py:19:19 ] ]
	v_dual_add_f32 v6, v6, v14 :: v_dual_add_f32 v63, v63, v67
	s_delay_alu instid0(VALU_DEP_4) | instskip(NEXT) | instid1(VALU_DEP_4)
.Ltmp288:
	.loc	2 293 36                        ; standard.py:293:36 @[ attention_bwd.py:19:19 ]
	v_permlanex16_b32 v9, v4, -1, -1 op_sel:[1,0]
.Ltmp289:
	.loc	2 263 15                        ; standard.py:263:15 @[ standard.py:293:36 @[ attention_bwd.py:19:19 ] ]
	v_add_f32_e32 v7, v7, v12
	s_delay_alu instid0(VALU_DEP_4) | instskip(NEXT) | instid1(VALU_DEP_4)
	v_add_f32_e32 v3, v3, v8
.Ltmp290:
	.loc	2 293 36                        ; standard.py:293:36 @[ attention_bwd.py:19:19 ]
	v_readlane_b32 s52, v6, 31
	v_mov_b32_dpp v6, v37 row_shr:8 row_mask:0xf bank_mask:0xf bound_ctrl:1
.Ltmp291:
	.loc	2 263 15                        ; standard.py:263:15 @[ standard.py:293:36 @[ attention_bwd.py:19:19 ] ]
	v_add_f32_e32 v61, v61, v68
.Ltmp292:
	.loc	2 293 36                        ; standard.py:293:36 @[ attention_bwd.py:19:19 ]
	v_readlane_b32 s61, v7, 31
	v_mov_b32_dpp v7, v48 row_shr:8 row_mask:0xf bank_mask:0xf bound_ctrl:1
	v_readlane_b32 s75, v3, 31
.Ltmp293:
	.loc	2 263 15                        ; standard.py:263:15 @[ standard.py:293:36 @[ attention_bwd.py:19:19 ] ]
	v_fma_mix_f32 v6, v22, v18, v6 op_sel_hi:[1,1,0]
.Ltmp294:
	.loc	2 293 36                        ; standard.py:293:36 @[ attention_bwd.py:19:19 ]
	v_mov_b32_dpp v3, v41 row_shr:8 row_mask:0xf bank_mask:0xf bound_ctrl:1
	v_readlane_b32 s34, v70, 31
.Ltmp295:
	.loc	2 263 15                        ; standard.py:263:15 @[ standard.py:293:36 @[ attention_bwd.py:19:19 ] ]
	v_fma_mix_f32 v7, v116, v115, v7 op_sel_hi:[1,1,0]
.Ltmp296:
	.loc	2 293 36                        ; standard.py:293:36 @[ attention_bwd.py:19:19 ]
	v_readlane_b32 s53, v64, 31
.Ltmp297:
	.loc	2 263 15                        ; standard.py:263:15 @[ standard.py:293:36 @[ attention_bwd.py:19:19 ] ]
	v_add_f32_dpp v6, v6, v6 row_shr:4 row_mask:0xf bank_mask:0xf bound_ctrl:1
	v_fma_mix_f32 v3, v98, v97, v3 op_sel_hi:[1,1,0]
.Ltmp298:
	.loc	2 293 36                        ; standard.py:293:36 @[ attention_bwd.py:19:19 ]
	v_readlane_b32 s46, v63, 31
.Ltmp299:
	.loc	2 263 15                        ; standard.py:263:15 @[ standard.py:293:36 @[ attention_bwd.py:19:19 ] ]
	v_add_f32_dpp v7, v7, v7 row_shr:4 row_mask:0xf bank_mask:0xf bound_ctrl:1
.Ltmp300:
	.loc	2 293 36                        ; standard.py:293:36 @[ attention_bwd.py:19:19 ]
	v_readlane_b32 s41, v61, 31
.Ltmp301:
	.loc	2 263 15                        ; standard.py:263:15 @[ standard.py:293:36 @[ attention_bwd.py:19:19 ] ]
	v_add_f32_dpp v6, v6, v6 row_shr:2 row_mask:0xf bank_mask:0xf bound_ctrl:1
	v_add_f32_dpp v3, v3, v3 row_shr:4 row_mask:0xf bank_mask:0xf bound_ctrl:1
.Ltmp302:
	.loc	2 293 36                        ; standard.py:293:36 @[ attention_bwd.py:19:19 ]
	v_readlane_b32 s39, v62, 31
.Ltmp303:
	.loc	2 263 15                        ; standard.py:263:15 @[ standard.py:293:36 @[ attention_bwd.py:19:19 ] ]
	v_add_f32_dpp v7, v7, v7 row_shr:2 row_mask:0xf bank_mask:0xf bound_ctrl:1
.Ltmp304:
	.loc	2 293 36                        ; standard.py:293:36 @[ attention_bwd.py:19:19 ]
	v_readlane_b32 s51, v60, 31
.Ltmp305:
	.loc	2 263 15                        ; standard.py:263:15 @[ standard.py:293:36 @[ attention_bwd.py:19:19 ] ]
	v_add_f32_dpp v6, v6, v6 row_shr:1 row_mask:0xf bank_mask:0xf bound_ctrl:1
	v_add_f32_dpp v3, v3, v3 row_shr:2 row_mask:0xf bank_mask:0xf bound_ctrl:1
.Ltmp306:
	.loc	2 293 36                        ; standard.py:293:36 @[ attention_bwd.py:19:19 ]
	v_readlane_b32 s100, v5, 31
.Ltmp307:
	.loc	2 263 15                        ; standard.py:263:15 @[ standard.py:293:36 @[ attention_bwd.py:19:19 ] ]
	v_add_f32_dpp v7, v7, v7 row_shr:1 row_mask:0xf bank_mask:0xf bound_ctrl:1
	s_delay_alu instid0(VALU_DEP_4) | instskip(NEXT) | instid1(VALU_DEP_4)
.Ltmp308:
	.loc	2 293 36                        ; standard.py:293:36 @[ attention_bwd.py:19:19 ]
	v_permlanex16_b32 v11, v6, -1, -1 op_sel:[1,0]
.Ltmp309:
	.loc	2 263 15                        ; standard.py:263:15 @[ standard.py:293:36 @[ attention_bwd.py:19:19 ] ]
	v_add_f32_dpp v3, v3, v3 row_shr:1 row_mask:0xf bank_mask:0xf bound_ctrl:1
	s_delay_alu instid0(VALU_DEP_3) | instskip(SKIP_1) | instid1(VALU_DEP_3)
.Ltmp310:
	.loc	2 293 36                        ; standard.py:293:36 @[ attention_bwd.py:19:19 ]
	v_permlanex16_b32 v12, v7, -1, -1 op_sel:[1,0]
.Ltmp311:
	.loc	2 263 15                        ; standard.py:263:15 @[ standard.py:293:36 @[ attention_bwd.py:19:19 ] ]
	v_add_f32_e32 v4, v4, v9
.Ltmp312:
	.loc	2 293 36                        ; standard.py:293:36 @[ attention_bwd.py:19:19 ]
	v_permlanex16_b32 v8, v3, -1, -1 op_sel:[1,0]
	s_delay_alu instid0(VALU_DEP_3) | instskip(NEXT) | instid1(VALU_DEP_3)
.Ltmp313:
	.loc	2 263 15                        ; standard.py:263:15 @[ standard.py:293:36 @[ attention_bwd.py:19:19 ] ]
	v_dual_add_f32 v6, v6, v11 :: v_dual_add_f32 v7, v7, v12
.Ltmp314:
	.loc	2 293 36                        ; standard.py:293:36 @[ attention_bwd.py:19:19 ]
	v_readlane_b32 s65, v4, 31
	v_mov_b32_dpp v4, v35 row_shr:8 row_mask:0xf bank_mask:0xf bound_ctrl:1
	s_delay_alu instid0(VALU_DEP_4) | instskip(NEXT) | instid1(VALU_DEP_4)
.Ltmp315:
	.loc	2 263 15                        ; standard.py:263:15 @[ standard.py:293:36 @[ attention_bwd.py:19:19 ] ]
	v_add_f32_e32 v3, v3, v8
.Ltmp316:
	.loc	2 293 36                        ; standard.py:293:36 @[ attention_bwd.py:19:19 ]
	v_readlane_b32 s59, v6, 31
	v_mov_b32_dpp v6, v32 row_shr:8 row_mask:0xf bank_mask:0xf bound_ctrl:1
	v_readlane_b32 s64, v7, 31
.Ltmp317:
	.loc	2 263 15                        ; standard.py:263:15 @[ standard.py:293:36 @[ attention_bwd.py:19:19 ] ]
	v_fma_mix_f32 v4, v93, v88, v4 op_sel_hi:[1,1,0]
.Ltmp318:
	.loc	2 293 36                        ; standard.py:293:36 @[ attention_bwd.py:19:19 ]
	v_mov_b32_dpp v7, v50 row_shr:8 row_mask:0xf bank_mask:0xf bound_ctrl:1
	v_readlane_b32 s102, v3, 31
.Ltmp319:
	.loc	2 263 15                        ; standard.py:263:15 @[ standard.py:293:36 @[ attention_bwd.py:19:19 ] ]
	v_fma_mix_f32 v6, v95, v90, v6 op_sel_hi:[1,1,0]
	s_delay_alu instid0(VALU_DEP_4) | instskip(NEXT) | instid1(VALU_DEP_4)
	v_add_f32_dpp v4, v4, v4 row_shr:4 row_mask:0xf bank_mask:0xf bound_ctrl:1
	v_fma_mix_f32 v7, v29, v106, v7 op_sel_hi:[1,1,0]
	s_delay_alu instid0(VALU_DEP_3) | instskip(NEXT) | instid1(VALU_DEP_3)
	v_add_f32_dpp v6, v6, v6 row_shr:4 row_mask:0xf bank_mask:0xf bound_ctrl:1
	v_add_f32_dpp v4, v4, v4 row_shr:2 row_mask:0xf bank_mask:0xf bound_ctrl:1
	s_delay_alu instid0(VALU_DEP_3) | instskip(NEXT) | instid1(VALU_DEP_3)
	v_add_f32_dpp v7, v7, v7 row_shr:4 row_mask:0xf bank_mask:0xf bound_ctrl:1
	v_add_f32_dpp v6, v6, v6 row_shr:2 row_mask:0xf bank_mask:0xf bound_ctrl:1
	;; [unrolled: 3-line block ×3, first 2 shown]
	s_delay_alu instid0(VALU_DEP_3) | instskip(NEXT) | instid1(VALU_DEP_3)
	v_add_f32_dpp v6, v6, v6 row_shr:1 row_mask:0xf bank_mask:0xf bound_ctrl:1
.Ltmp320:
	.loc	2 293 36                        ; standard.py:293:36 @[ attention_bwd.py:19:19 ]
	v_permlanex16_b32 v9, v4, -1, -1 op_sel:[1,0]
	s_delay_alu instid0(VALU_DEP_3) | instskip(NEXT) | instid1(VALU_DEP_3)
.Ltmp321:
	.loc	2 263 15                        ; standard.py:263:15 @[ standard.py:293:36 @[ attention_bwd.py:19:19 ] ]
	v_add_f32_dpp v7, v7, v7 row_shr:1 row_mask:0xf bank_mask:0xf bound_ctrl:1
.Ltmp322:
	.loc	2 293 36                        ; standard.py:293:36 @[ attention_bwd.py:19:19 ]
	v_permlanex16_b32 v11, v6, -1, -1 op_sel:[1,0]
	s_delay_alu instid0(VALU_DEP_2) | instskip(NEXT) | instid1(VALU_DEP_4)
	v_permlanex16_b32 v12, v7, -1, -1 op_sel:[1,0]
.Ltmp323:
	.loc	2 263 15                        ; standard.py:263:15 @[ standard.py:293:36 @[ attention_bwd.py:19:19 ] ]
	v_add_f32_e32 v4, v4, v9
	s_delay_alu instid0(VALU_DEP_2) | instskip(NEXT) | instid1(VALU_DEP_2)
	v_dual_add_f32 v6, v6, v11 :: v_dual_add_f32 v7, v7, v12
.Ltmp324:
	.loc	2 293 36                        ; standard.py:293:36 @[ attention_bwd.py:19:19 ]
	v_readlane_b32 s68, v4, 31
	s_delay_alu instid0(VALU_DEP_2) | instskip(SKIP_3) | instid1(VALU_DEP_3)
	v_readlane_b32 s62, v6, 31
	v_mov_b32_dpp v4, v55 row_shr:8 row_mask:0xf bank_mask:0xf bound_ctrl:1
	v_mov_b32_dpp v6, v51 row_shr:8 row_mask:0xf bank_mask:0xf bound_ctrl:1
	v_readlane_b32 s72, v7, 31
.Ltmp325:
	.loc	2 263 15                        ; standard.py:263:15 @[ standard.py:293:36 @[ attention_bwd.py:19:19 ] ]
	v_fma_mix_f32 v4, v86, v84, v4 op_sel_hi:[1,1,0]
	s_delay_alu instid0(VALU_DEP_3) | instskip(NEXT) | instid1(VALU_DEP_2)
	v_fma_mix_f32 v6, v114, v113, v6 op_sel_hi:[1,1,0]
	v_add_f32_dpp v4, v4, v4 row_shr:4 row_mask:0xf bank_mask:0xf bound_ctrl:1
	s_delay_alu instid0(VALU_DEP_2) | instskip(NEXT) | instid1(VALU_DEP_2)
	v_add_f32_dpp v6, v6, v6 row_shr:4 row_mask:0xf bank_mask:0xf bound_ctrl:1
	v_add_f32_dpp v4, v4, v4 row_shr:2 row_mask:0xf bank_mask:0xf bound_ctrl:1
	s_delay_alu instid0(VALU_DEP_2) | instskip(NEXT) | instid1(VALU_DEP_2)
	v_add_f32_dpp v6, v6, v6 row_shr:2 row_mask:0xf bank_mask:0xf bound_ctrl:1
	;; [unrolled: 3-line block ×3, first 2 shown]
.Ltmp326:
	.loc	2 293 36                        ; standard.py:293:36 @[ attention_bwd.py:19:19 ]
	v_permlanex16_b32 v9, v4, -1, -1 op_sel:[1,0]
	s_delay_alu instid0(VALU_DEP_2) | instskip(NEXT) | instid1(VALU_DEP_2)
	v_permlanex16_b32 v11, v6, -1, -1 op_sel:[1,0]
.Ltmp327:
	.loc	2 263 15                        ; standard.py:263:15 @[ standard.py:293:36 @[ attention_bwd.py:19:19 ] ]
	v_add_f32_e32 v4, v4, v9
	s_delay_alu instid0(VALU_DEP_2) | instskip(NEXT) | instid1(VALU_DEP_2)
	v_add_f32_e32 v6, v6, v11
.Ltmp328:
	.loc	2 293 36                        ; standard.py:293:36 @[ attention_bwd.py:19:19 ]
	v_readlane_b32 s74, v4, 31
	s_delay_alu instid0(VALU_DEP_2) | instskip(SKIP_2) | instid1(VALU_DEP_2)
	v_readlane_b32 s69, v6, 31
	v_mov_b32_dpp v4, v49 row_shr:8 row_mask:0xf bank_mask:0xf bound_ctrl:1
	v_mov_b32_dpp v6, v53 row_shr:8 row_mask:0xf bank_mask:0xf bound_ctrl:1
.Ltmp329:
	.loc	2 263 15                        ; standard.py:263:15 @[ standard.py:293:36 @[ attention_bwd.py:19:19 ] ]
	v_fma_mix_f32 v4, v100, v99, v4 op_sel_hi:[1,1,0]
	s_delay_alu instid0(VALU_DEP_2) | instskip(NEXT) | instid1(VALU_DEP_2)
	v_fma_mix_f32 v6, v104, v103, v6 op_sel_hi:[1,1,0]
	v_add_f32_dpp v4, v4, v4 row_shr:4 row_mask:0xf bank_mask:0xf bound_ctrl:1
	s_delay_alu instid0(VALU_DEP_2) | instskip(NEXT) | instid1(VALU_DEP_2)
	v_add_f32_dpp v6, v6, v6 row_shr:4 row_mask:0xf bank_mask:0xf bound_ctrl:1
	v_add_f32_dpp v4, v4, v4 row_shr:2 row_mask:0xf bank_mask:0xf bound_ctrl:1
	s_delay_alu instid0(VALU_DEP_2) | instskip(NEXT) | instid1(VALU_DEP_2)
	v_add_f32_dpp v6, v6, v6 row_shr:2 row_mask:0xf bank_mask:0xf bound_ctrl:1
	;; [unrolled: 3-line block ×3, first 2 shown]
.Ltmp330:
	.loc	2 293 36                        ; standard.py:293:36 @[ attention_bwd.py:19:19 ]
	v_permlanex16_b32 v9, v4, -1, -1 op_sel:[1,0]
	s_delay_alu instid0(VALU_DEP_2) | instskip(NEXT) | instid1(VALU_DEP_2)
	v_permlanex16_b32 v11, v6, -1, -1 op_sel:[1,0]
.Ltmp331:
	.loc	2 263 15                        ; standard.py:263:15 @[ standard.py:293:36 @[ attention_bwd.py:19:19 ] ]
	v_add_f32_e32 v4, v4, v9
	s_delay_alu instid0(VALU_DEP_2) | instskip(NEXT) | instid1(VALU_DEP_2)
	v_add_f32_e32 v6, v6, v11
.Ltmp332:
	.loc	2 293 36                        ; standard.py:293:36 @[ attention_bwd.py:19:19 ]
	v_readlane_b32 s101, v4, 31
	s_delay_alu instid0(VALU_DEP_2)
	v_readlane_b32 s73, v6, 31
	s_and_saveexec_b32 s103, vcc_lo
	s_cbranch_execnz .LBB0_38
; %bb.1:                                ; %.critedge
	.loc	2 0 36 is_stmt 0                ; standard.py:0:36
	s_or_b32 exec_lo, exec_lo, s103
	.loc	2 293 36                        ; standard.py:293:36 @[ attention_bwd.py:19:19 ]
	s_and_saveexec_b32 s19, vcc_lo
	s_cbranch_execnz .LBB0_39
.LBB0_2:                                ; %.critedge4
	.loc	2 0 36                          ; standard.py:0:36
	s_wait_alu depctr_sa_sdst(0)
	s_or_b32 exec_lo, exec_lo, s19
	.loc	2 293 36                        ; standard.py:293:36 @[ attention_bwd.py:19:19 ]
	s_and_saveexec_b32 s7, vcc_lo
	s_cbranch_execnz .LBB0_40
.LBB0_3:                                ; %.critedge8
	.loc	2 0 36                          ; standard.py:0:36
	s_wait_alu depctr_sa_sdst(0)
	s_or_b32 exec_lo, exec_lo, s7
	.loc	2 293 36                        ; standard.py:293:36 @[ attention_bwd.py:19:19 ]
	s_and_saveexec_b32 s7, vcc_lo
	s_cbranch_execnz .LBB0_41
.LBB0_4:                                ; %.critedge12
	.loc	2 0 36                          ; standard.py:0:36
	s_wait_alu depctr_sa_sdst(0)
	s_or_b32 exec_lo, exec_lo, s7
	.loc	2 293 36                        ; standard.py:293:36 @[ attention_bwd.py:19:19 ]
	s_and_saveexec_b32 s7, vcc_lo
	s_cbranch_execnz .LBB0_42
.LBB0_5:                                ; %.critedge16
	.loc	2 0 36                          ; standard.py:0:36
	s_wait_alu depctr_sa_sdst(0)
	s_or_b32 exec_lo, exec_lo, s7
	.loc	2 293 36                        ; standard.py:293:36 @[ attention_bwd.py:19:19 ]
	s_and_saveexec_b32 s7, vcc_lo
	s_cbranch_execnz .LBB0_43
.LBB0_6:                                ; %.critedge20
	.loc	2 0 36                          ; standard.py:0:36
	s_wait_alu depctr_sa_sdst(0)
	s_or_b32 exec_lo, exec_lo, s7
	.loc	2 293 36                        ; standard.py:293:36 @[ attention_bwd.py:19:19 ]
	s_and_saveexec_b32 s7, vcc_lo
	s_cbranch_execnz .LBB0_44
.LBB0_7:                                ; %.critedge24
	.loc	2 0 36                          ; standard.py:0:36
	s_wait_alu depctr_sa_sdst(0)
	s_or_b32 exec_lo, exec_lo, s7
	.loc	2 293 36                        ; standard.py:293:36 @[ attention_bwd.py:19:19 ]
	s_and_saveexec_b32 s4, vcc_lo
	s_cbranch_execnz .LBB0_45
.LBB0_8:                                ; %.critedge28
	.loc	2 0 36                          ; standard.py:0:36
	s_wait_alu depctr_sa_sdst(0)
	s_or_b32 exec_lo, exec_lo, s4
	.loc	2 293 36                        ; standard.py:293:36 @[ attention_bwd.py:19:19 ]
	s_and_saveexec_b32 s4, vcc_lo
	s_cbranch_execnz .LBB0_46
.LBB0_9:                                ; %.critedge32
	.loc	2 0 36                          ; standard.py:0:36
	s_wait_alu depctr_sa_sdst(0)
	s_or_b32 exec_lo, exec_lo, s4
	.loc	2 293 36                        ; standard.py:293:36 @[ attention_bwd.py:19:19 ]
	s_and_saveexec_b32 s4, vcc_lo
	s_cbranch_execnz .LBB0_47
.LBB0_10:                               ; %.critedge36
	.loc	2 0 36                          ; standard.py:0:36
	s_wait_alu depctr_sa_sdst(0)
	s_or_b32 exec_lo, exec_lo, s4
	.loc	2 293 36                        ; standard.py:293:36 @[ attention_bwd.py:19:19 ]
	s_and_saveexec_b32 s4, vcc_lo
	s_cbranch_execnz .LBB0_48
.LBB0_11:                               ; %.critedge40
	.loc	2 0 36                          ; standard.py:0:36
	s_wait_alu depctr_sa_sdst(0)
	s_or_b32 exec_lo, exec_lo, s4
	.loc	2 293 36                        ; standard.py:293:36 @[ attention_bwd.py:19:19 ]
	s_and_saveexec_b32 s4, vcc_lo
	s_cbranch_execnz .LBB0_49
.LBB0_12:                               ; %.critedge44
	.loc	2 0 36                          ; standard.py:0:36
	s_wait_alu depctr_sa_sdst(0)
	s_or_b32 exec_lo, exec_lo, s4
	.loc	2 293 36                        ; standard.py:293:36 @[ attention_bwd.py:19:19 ]
	s_and_saveexec_b32 s4, vcc_lo
	s_cbranch_execnz .LBB0_50
.LBB0_13:                               ; %.critedge48
	.loc	2 0 36                          ; standard.py:0:36
	s_wait_alu depctr_sa_sdst(0)
	s_or_b32 exec_lo, exec_lo, s4
	.loc	2 293 36                        ; standard.py:293:36 @[ attention_bwd.py:19:19 ]
	s_and_saveexec_b32 s4, vcc_lo
	s_cbranch_execnz .LBB0_51
.LBB0_14:                               ; %.critedge52
	.loc	2 0 36                          ; standard.py:0:36
	s_wait_alu depctr_sa_sdst(0)
	s_or_b32 exec_lo, exec_lo, s4
	.loc	2 293 36                        ; standard.py:293:36 @[ attention_bwd.py:19:19 ]
	s_and_saveexec_b32 s4, vcc_lo
	s_cbranch_execnz .LBB0_52
.LBB0_15:                               ; %.critedge56
	.loc	2 0 36                          ; standard.py:0:36
	s_wait_alu depctr_sa_sdst(0)
	s_or_b32 exec_lo, exec_lo, s4
	.loc	2 293 36                        ; standard.py:293:36 @[ attention_bwd.py:19:19 ]
	s_and_saveexec_b32 s4, vcc_lo
	s_cbranch_execnz .LBB0_53
.LBB0_16:                               ; %.critedge60
	.loc	2 0 36                          ; standard.py:0:36
	s_wait_alu depctr_sa_sdst(0)
	s_or_b32 exec_lo, exec_lo, s4
	.loc	2 293 36                        ; standard.py:293:36 @[ attention_bwd.py:19:19 ]
	s_and_saveexec_b32 s4, vcc_lo
	s_cbranch_execnz .LBB0_54
.LBB0_17:                               ; %.critedge64
	.loc	2 0 36                          ; standard.py:0:36
	s_wait_alu depctr_sa_sdst(0)
	s_or_b32 exec_lo, exec_lo, s4
	.loc	2 293 36                        ; standard.py:293:36 @[ attention_bwd.py:19:19 ]
	s_and_saveexec_b32 s4, vcc_lo
	s_cbranch_execnz .LBB0_55
.LBB0_18:                               ; %.critedge68
	.loc	2 0 36                          ; standard.py:0:36
	s_wait_alu depctr_sa_sdst(0)
	s_or_b32 exec_lo, exec_lo, s4
	.loc	2 293 36                        ; standard.py:293:36 @[ attention_bwd.py:19:19 ]
	s_and_saveexec_b32 s4, vcc_lo
	s_cbranch_execnz .LBB0_56
.LBB0_19:                               ; %.critedge72
	.loc	2 0 36                          ; standard.py:0:36
	s_wait_alu depctr_sa_sdst(0)
	s_or_b32 exec_lo, exec_lo, s4
	.loc	2 293 36                        ; standard.py:293:36 @[ attention_bwd.py:19:19 ]
	s_and_saveexec_b32 s4, vcc_lo
	s_cbranch_execnz .LBB0_57
.LBB0_20:                               ; %.critedge76
	.loc	2 0 36                          ; standard.py:0:36
	s_wait_alu depctr_sa_sdst(0)
	s_or_b32 exec_lo, exec_lo, s4
	.loc	2 293 36                        ; standard.py:293:36 @[ attention_bwd.py:19:19 ]
	s_and_saveexec_b32 s4, vcc_lo
	s_cbranch_execnz .LBB0_58
.LBB0_21:                               ; %.critedge80
	.loc	2 0 36                          ; standard.py:0:36
	s_wait_alu depctr_sa_sdst(0)
	s_or_b32 exec_lo, exec_lo, s4
	.loc	2 293 36                        ; standard.py:293:36 @[ attention_bwd.py:19:19 ]
	s_and_saveexec_b32 s4, vcc_lo
	s_cbranch_execnz .LBB0_59
.LBB0_22:                               ; %.critedge84
	.loc	2 0 36                          ; standard.py:0:36
	s_wait_alu depctr_sa_sdst(0)
	s_or_b32 exec_lo, exec_lo, s4
	.loc	2 293 36                        ; standard.py:293:36 @[ attention_bwd.py:19:19 ]
	s_and_saveexec_b32 s4, vcc_lo
	s_cbranch_execnz .LBB0_60
.LBB0_23:                               ; %.critedge88
	.loc	2 0 36                          ; standard.py:0:36
	s_wait_alu depctr_sa_sdst(0)
	s_or_b32 exec_lo, exec_lo, s4
	.loc	2 293 36                        ; standard.py:293:36 @[ attention_bwd.py:19:19 ]
	s_and_saveexec_b32 s4, vcc_lo
	s_cbranch_execnz .LBB0_61
.LBB0_24:                               ; %.critedge92
	.loc	2 0 36                          ; standard.py:0:36
	s_wait_alu depctr_sa_sdst(0)
	s_or_b32 exec_lo, exec_lo, s4
	.loc	2 293 36                        ; standard.py:293:36 @[ attention_bwd.py:19:19 ]
	s_and_saveexec_b32 s4, vcc_lo
	s_cbranch_execnz .LBB0_62
.LBB0_25:                               ; %.critedge96
	.loc	2 0 36                          ; standard.py:0:36
	s_wait_alu depctr_sa_sdst(0)
	s_or_b32 exec_lo, exec_lo, s4
	.loc	2 293 36                        ; standard.py:293:36 @[ attention_bwd.py:19:19 ]
	s_and_saveexec_b32 s4, vcc_lo
	s_cbranch_execnz .LBB0_63
.LBB0_26:                               ; %.critedge100
	.loc	2 0 36                          ; standard.py:0:36
	s_wait_alu depctr_sa_sdst(0)
	s_or_b32 exec_lo, exec_lo, s4
	.loc	2 293 36                        ; standard.py:293:36 @[ attention_bwd.py:19:19 ]
	s_and_saveexec_b32 s4, vcc_lo
	s_cbranch_execnz .LBB0_64
.LBB0_27:                               ; %.critedge104
	.loc	2 0 36                          ; standard.py:0:36
	s_wait_alu depctr_sa_sdst(0)
	s_or_b32 exec_lo, exec_lo, s4
	.loc	2 293 36                        ; standard.py:293:36 @[ attention_bwd.py:19:19 ]
	s_and_saveexec_b32 s4, vcc_lo
	s_cbranch_execnz .LBB0_65
.LBB0_28:                               ; %.critedge108
	.loc	2 0 36                          ; standard.py:0:36
	s_wait_alu depctr_sa_sdst(0)
	s_or_b32 exec_lo, exec_lo, s4
	.loc	2 293 36                        ; standard.py:293:36 @[ attention_bwd.py:19:19 ]
	s_and_saveexec_b32 s4, vcc_lo
	s_cbranch_execnz .LBB0_66
.LBB0_29:                               ; %.critedge112
	.loc	2 0 36                          ; standard.py:0:36
	s_wait_alu depctr_sa_sdst(0)
	s_or_b32 exec_lo, exec_lo, s4
	.loc	2 293 36                        ; standard.py:293:36 @[ attention_bwd.py:19:19 ]
	s_and_saveexec_b32 s4, vcc_lo
	s_cbranch_execnz .LBB0_67
.LBB0_30:                               ; %.critedge116
	.loc	2 0 36                          ; standard.py:0:36
	s_wait_alu depctr_sa_sdst(0)
	s_or_b32 exec_lo, exec_lo, s4
	.loc	2 293 36                        ; standard.py:293:36 @[ attention_bwd.py:19:19 ]
	s_and_saveexec_b32 s4, vcc_lo
	s_cbranch_execnz .LBB0_68
.LBB0_31:                               ; %.critedge120
	.loc	2 0 36                          ; standard.py:0:36
	s_wait_alu depctr_sa_sdst(0)
	s_or_b32 exec_lo, exec_lo, s4
	.loc	2 293 36                        ; standard.py:293:36 @[ attention_bwd.py:19:19 ]
	s_and_saveexec_b32 s4, vcc_lo
	s_cbranch_execz .LBB0_33
.LBB0_32:
	.loc	2 0 36                          ; standard.py:0:36
	s_lshl3_add_u32 s5, s10, 0
	.loc	2 293 36                        ; standard.py:293:36 @[ attention_bwd.py:19:19 ]
	v_dual_mov_b32 v2, s73 :: v_dual_mov_b32 v3, s72
	s_wait_alu depctr_sa_sdst(0)
	s_lshl2_add_u32 s5, s99, s5
	s_wait_alu depctr_sa_sdst(0)
	s_add_co_i32 s6, s5, -16
	s_wait_alu depctr_sa_sdst(0)
	v_dual_mov_b32 v5, s5 :: v_dual_mov_b32 v4, s6
	ds_store_b32 v4, v2
	ds_store_b32 v5, v3
.LBB0_33:                               ; %.critedge124
	.loc	2 0 36                          ; standard.py:0:36
	s_wait_alu depctr_sa_sdst(0)
	s_or_b32 exec_lo, exec_lo, s4
	.loc	2 293 36                        ; standard.py:293:36 @[ attention_bwd.py:19:19 ]
	s_wait_dscnt 0x0
	s_barrier_signal -1
	v_lshl_add_u32 v2, v0, 2, 0
	v_and_b32_e32 v5, 1, v0
	s_delay_alu instid0(VALU_DEP_1)
	v_cmp_eq_u32_e32 vcc_lo, 0, v5
	s_barrier_wait -1
	global_inv scope:SCOPE_SE
	ds_load_b32 v3, v2
	s_wait_dscnt 0x0
	v_mov_b32_e32 v4, v3
	s_delay_alu instid0(VALU_DEP_1)
	v_mov_b32_dpp v4, v4 quad_perm:[1,0,3,2] row_mask:0xf bank_mask:0xf
	s_and_saveexec_b32 s4, vcc_lo
; %bb.34:
	.loc	2 0 36                          ; standard.py:0:36
	s_delay_alu instid0(VALU_DEP_1)
	v_add_f32_e32 v3, v3, v4
	.loc	2 293 36                        ; standard.py:293:36 @[ attention_bwd.py:19:19 ]
	ds_store_b32 v2, v3
; %bb.35:
	.loc	2 0 36                          ; standard.py:0:36
	s_wait_alu depctr_sa_sdst(0)
	s_or_b32 exec_lo, exec_lo, s4
	.loc	2 293 36                        ; standard.py:293:36 @[ attention_bwd.py:19:19 ]
	ds_load_b32 v3, v2 offset:512
	s_load_b64 s[0:1], s[0:1], 0x10
.Ltmp333:
	.loc	1 0 0                           ; attention_bwd.py:0
	s_and_b32 s4, s3, 2
.Ltmp334:
	.loc	2 293 36                        ; standard.py:293:36 @[ attention_bwd.py:19:19 ]
	s_wait_dscnt 0x0
	v_mov_b32_e32 v4, v3
	s_delay_alu instid0(VALU_DEP_1)
	v_mov_b32_dpp v4, v4 quad_perm:[1,0,3,2] row_mask:0xf bank_mask:0xf
	s_and_saveexec_b32 s5, vcc_lo
; %bb.36:
	.loc	2 0 36                          ; standard.py:0:36
	s_delay_alu instid0(VALU_DEP_1)
	v_add_f32_e32 v3, v3, v4
	.loc	2 293 36                        ; standard.py:293:36 @[ attention_bwd.py:19:19 ]
	ds_store_b32 v2, v3 offset:512
; %bb.37:
	.loc	2 0 36                          ; standard.py:0:36
	s_wait_alu depctr_sa_sdst(0)
	s_or_b32 exec_lo, exec_lo, s5
	.loc	2 293 36                        ; standard.py:293:36 @[ attention_bwd.py:19:19 ]
	s_wait_loadcnt_dscnt 0x0
	s_barrier_signal -1
	s_lshl2_add_u32 s5, s4, 0
	s_lshl3_add_u32 s6, s76, 0
	s_wait_alu depctr_sa_sdst(0)
	v_dual_mov_b32 v2, s5 :: v_dual_mov_b32 v65, s6
.Ltmp335:
	.loc	1 21 45 is_stmt 1               ; attention_bwd.py:21:45
	s_lshl_b32 s4, s4, 5
	s_lshl_b32 s3, s3, 7
	s_wait_alu depctr_sa_sdst(0)
	s_add_co_i32 s4, s4, 0
	s_and_b32 s3, s3, 0x180
	s_wait_alu depctr_sa_sdst(0)
	s_add_co_i32 s3, s3, 0
.Ltmp336:
	.loc	2 293 36                        ; standard.py:293:36 @[ attention_bwd.py:19:19 ]
	s_barrier_wait -1
	global_inv scope:SCOPE_SE
	ds_load_2addr_b32 v[3:4], v2 offset1:8
	ds_load_2addr_b32 v[5:6], v65 offset1:8
	ds_load_2addr_b32 v[7:8], v2 offset0:16 offset1:24
	ds_load_2addr_b32 v[9:10], v65 offset0:16 offset1:24
	;; [unrolled: 1-line block ×30, first 2 shown]
.Ltmp337:
	.loc	1 21 45                         ; attention_bwd.py:21:45
	s_wait_dscnt 0x1f
	v_dual_mov_b32 v67, s4 :: v_dual_mov_b32 v2, v3
	s_wait_dscnt 0x1e
	v_mov_b32_e32 v3, v5
	s_wait_dscnt 0x1d
	v_dual_mov_b32 v5, v6 :: v_dual_mov_b32 v6, v7
	s_wait_dscnt 0x1c
	v_mov_b32_e32 v7, v9
	;; [unrolled: 4-line block ×16, first 2 shown]
	v_mov_b32_e32 v65, v66
	s_wait_loadcnt 0x0
	s_barrier_signal -1
	s_barrier_wait -1
	global_inv scope:SCOPE_SE
	ds_store_b128 v67, v[2:5]
	ds_store_b128 v67, v[6:9] offset:16
	ds_store_b128 v67, v[10:13] offset:32
	;; [unrolled: 1-line block ×15, first 2 shown]
	s_wait_loadcnt_dscnt 0x0
	s_barrier_signal -1
	v_lshlrev_b32_e32 v2, 1, v0
	v_lshlrev_b32_e32 v0, 6, v0
	s_delay_alu instid0(VALU_DEP_2) | instskip(NEXT) | instid1(VALU_DEP_2)
	v_and_b32_e32 v2, 60, v2
	v_and_b32_e32 v0, 64, v0
	s_wait_alu depctr_sa_sdst(0)
	s_delay_alu instid0(VALU_DEP_1)
	v_add3_u32 v2, s3, v0, v2
	.loc	1 13 41                         ; attention_bwd.py:13:41
	v_and_or_b32 v0, 0x7f, v1, s33
	.loc	1 21 21                         ; attention_bwd.py:21:21
	s_ashr_i32 s3, s2, 31
	.loc	1 21 45 is_stmt 0               ; attention_bwd.py:21:45
	s_barrier_wait -1
	global_inv scope:SCOPE_SE
	ds_load_b32 v2, v2
	.loc	1 21 38                         ; attention_bwd.py:21:38
	v_ashrrev_i32_e32 v1, 31, v0
	.loc	1 21 21                         ; attention_bwd.py:21:21
	s_wait_alu depctr_sa_sdst(0)
	s_lshl_b64 s[2:3], s[2:3], 2
	s_wait_kmcnt 0x0
	s_wait_alu depctr_sa_sdst(0)
	s_add_nc_u64 s[0:1], s[0:1], s[2:3]
	.loc	1 21 38                         ; attention_bwd.py:21:38
	v_lshlrev_b64_e32 v[0:1], 2, v[0:1]
	s_delay_alu instid0(VALU_DEP_1) | instskip(NEXT) | instid1(VALU_DEP_1)
	v_add_co_u32 v0, vcc_lo, s0, v0
	v_add_co_ci_u32_e64 v1, null, s1, v1, vcc_lo
	.loc	1 21 45                         ; attention_bwd.py:21:45
	s_wait_dscnt 0x0
	global_store_b32 v[0:1], v2, off
	.loc	1 21 4                          ; attention_bwd.py:21:4
	s_nop 0
	s_sendmsg sendmsg(MSG_DEALLOC_VGPRS)
	s_endpgm
.LBB0_38:
	.loc	1 0 4                           ; attention_bwd.py:0:4
	s_and_b32 s78, s3, 3
	s_lshl3_add_u32 s79, s76, 0
	s_lshl2_add_u32 s78, s78, 0
	s_lshl2_add_u32 s79, s99, s79
.Ltmp338:
	.loc	2 293 36 is_stmt 1              ; standard.py:293:36 @[ attention_bwd.py:19:19 ]
	v_dual_mov_b32 v2, s78 :: v_dual_mov_b32 v3, s20
	v_dual_mov_b32 v4, s19 :: v_dual_mov_b32 v5, s79
	ds_store_b32 v2, v3
	ds_store_b32 v5, v4
	s_or_b32 exec_lo, exec_lo, s103
	s_and_saveexec_b32 s19, vcc_lo
	s_cbranch_execz .LBB0_2
.LBB0_39:
	.loc	2 0 36 is_stmt 0                ; standard.py:0:36
	v_readlane_b32 s20, v150, 0
	.loc	2 293 36                        ; standard.py:293:36 @[ attention_bwd.py:19:19 ]
	v_dual_mov_b32 v2, s7 :: v_dual_mov_b32 v3, s27
	s_lshl3_add_u32 s20, s20, 0
	s_wait_alu depctr_sa_sdst(0)
	s_lshl2_add_u32 s20, s99, s20
	s_wait_alu depctr_sa_sdst(0)
	s_add_co_i32 s7, s20, -16
	s_wait_alu depctr_sa_sdst(0)
	v_dual_mov_b32 v5, s20 :: v_dual_mov_b32 v4, s7
	ds_store_b32 v4, v2
	ds_store_b32 v5, v3
	s_or_b32 exec_lo, exec_lo, s19
	s_and_saveexec_b32 s7, vcc_lo
	s_cbranch_execz .LBB0_3
.LBB0_40:
	.loc	2 0 36                          ; standard.py:0:36
	v_readlane_b32 s19, v150, 1
	.loc	2 293 36                        ; standard.py:293:36 @[ attention_bwd.py:19:19 ]
	s_wait_alu depctr_va_sdst(0)
	v_dual_mov_b32 v2, s22 :: v_dual_mov_b32 v3, s21
	s_lshl3_add_u32 s19, s19, 0
	s_wait_alu depctr_sa_sdst(0)
	s_lshl2_add_u32 s19, s99, s19
	s_wait_alu depctr_sa_sdst(0)
	s_add_co_i32 s20, s19, -16
	s_wait_alu depctr_sa_sdst(0)
	v_dual_mov_b32 v5, s19 :: v_dual_mov_b32 v4, s20
	ds_store_b32 v4, v2
	ds_store_b32 v5, v3
	s_or_b32 exec_lo, exec_lo, s7
	s_and_saveexec_b32 s7, vcc_lo
	s_cbranch_execz .LBB0_4
.LBB0_41:
	.loc	2 0 36                          ; standard.py:0:36
	v_readlane_b32 s19, v150, 2
	.loc	2 293 36                        ; standard.py:293:36 @[ attention_bwd.py:19:19 ]
	s_wait_alu depctr_va_sdst(0)
	v_dual_mov_b32 v2, s14 :: v_dual_mov_b32 v3, s8
	s_lshl3_add_u32 s19, s19, 0
	s_wait_alu depctr_sa_sdst(0)
	s_lshl2_add_u32 s19, s99, s19
	s_wait_alu depctr_sa_sdst(0)
	s_add_co_i32 s14, s19, -16
	s_wait_alu depctr_sa_sdst(0)
	v_dual_mov_b32 v5, s19 :: v_dual_mov_b32 v4, s14
	ds_store_b32 v4, v2
	ds_store_b32 v5, v3
	s_or_b32 exec_lo, exec_lo, s7
	s_and_saveexec_b32 s7, vcc_lo
	s_cbranch_execz .LBB0_5
.LBB0_42:
	.loc	2 0 36                          ; standard.py:0:36
	v_readlane_b32 s8, v150, 3
	.loc	2 293 36                        ; standard.py:293:36 @[ attention_bwd.py:19:19 ]
	s_wait_alu depctr_va_sdst(0)
	v_dual_mov_b32 v2, s24 :: v_dual_mov_b32 v3, s23
	s_lshl3_add_u32 s8, s8, 0
	s_wait_alu depctr_sa_sdst(0)
	s_lshl2_add_u32 s8, s99, s8
	s_wait_alu depctr_sa_sdst(0)
	s_add_co_i32 s14, s8, -16
	s_wait_alu depctr_sa_sdst(0)
	v_dual_mov_b32 v5, s8 :: v_dual_mov_b32 v4, s14
	ds_store_b32 v4, v2
	ds_store_b32 v5, v3
	s_or_b32 exec_lo, exec_lo, s7
	s_and_saveexec_b32 s7, vcc_lo
	s_cbranch_execz .LBB0_6
.LBB0_43:
	.loc	2 0 36                          ; standard.py:0:36
	v_readlane_b32 s8, v150, 4
	.loc	2 293 36                        ; standard.py:293:36 @[ attention_bwd.py:19:19 ]
	s_wait_alu depctr_va_sdst(0)
	v_dual_mov_b32 v2, s16 :: v_dual_mov_b32 v3, s15
	s_lshl3_add_u32 s8, s8, 0
	s_wait_alu depctr_sa_sdst(0)
	s_lshl2_add_u32 s8, s99, s8
	s_wait_alu depctr_sa_sdst(0)
	s_add_co_i32 s14, s8, -16
	s_wait_alu depctr_sa_sdst(0)
	v_dual_mov_b32 v5, s8 :: v_dual_mov_b32 v4, s14
	ds_store_b32 v4, v2
	ds_store_b32 v5, v3
	s_or_b32 exec_lo, exec_lo, s7
	s_and_saveexec_b32 s7, vcc_lo
	s_cbranch_execz .LBB0_7
.LBB0_44:
	.loc	2 0 36                          ; standard.py:0:36
	v_readlane_b32 s8, v150, 5
	.loc	2 293 36                        ; standard.py:293:36 @[ attention_bwd.py:19:19 ]
	s_wait_alu depctr_va_sdst(0)
	v_dual_mov_b32 v2, s4 :: v_dual_mov_b32 v3, s25
	s_lshl3_add_u32 s8, s8, 0
	s_wait_alu depctr_sa_sdst(0)
	s_lshl2_add_u32 s8, s99, s8
	s_wait_alu depctr_sa_sdst(0)
	s_add_co_i32 s4, s8, -16
	s_wait_alu depctr_sa_sdst(0)
	v_dual_mov_b32 v5, s8 :: v_dual_mov_b32 v4, s4
	ds_store_b32 v4, v2
	ds_store_b32 v5, v3
	s_or_b32 exec_lo, exec_lo, s7
	s_and_saveexec_b32 s4, vcc_lo
	s_cbranch_execz .LBB0_8
.LBB0_45:
	.loc	2 0 36                          ; standard.py:0:36
	v_readlane_b32 s7, v150, 6
	.loc	2 293 36                        ; standard.py:293:36 @[ attention_bwd.py:19:19 ]
	s_wait_alu depctr_va_sdst(0)
	v_dual_mov_b32 v2, s18 :: v_dual_mov_b32 v3, s17
	s_lshl3_add_u32 s7, s7, 0
	s_wait_alu depctr_sa_sdst(0)
	s_lshl2_add_u32 s7, s99, s7
	s_wait_alu depctr_sa_sdst(0)
	s_add_co_i32 s8, s7, -16
	s_wait_alu depctr_sa_sdst(0)
	v_dual_mov_b32 v5, s7 :: v_dual_mov_b32 v4, s8
	ds_store_b32 v4, v2
	ds_store_b32 v5, v3
	s_or_b32 exec_lo, exec_lo, s4
	s_and_saveexec_b32 s4, vcc_lo
	s_cbranch_execz .LBB0_9
.LBB0_46:
	.loc	2 0 36                          ; standard.py:0:36
	v_readlane_b32 s7, v150, 7
	.loc	2 293 36                        ; standard.py:293:36 @[ attention_bwd.py:19:19 ]
	v_dual_mov_b32 v2, s5 :: v_dual_mov_b32 v3, s6
	s_lshl3_add_u32 s7, s7, 0
	s_wait_alu depctr_sa_sdst(0)
	s_lshl2_add_u32 s7, s99, s7
	s_wait_alu depctr_sa_sdst(0)
	s_add_co_i32 s5, s7, -16
	s_wait_alu depctr_sa_sdst(0)
	v_dual_mov_b32 v5, s7 :: v_dual_mov_b32 v4, s5
	ds_store_b32 v4, v2
	ds_store_b32 v5, v3
	s_or_b32 exec_lo, exec_lo, s4
	s_and_saveexec_b32 s4, vcc_lo
	s_cbranch_execz .LBB0_10
.LBB0_47:
	.loc	2 0 36                          ; standard.py:0:36
	s_lshl3_add_u32 s5, s98, 0
	.loc	2 293 36                        ; standard.py:293:36 @[ attention_bwd.py:19:19 ]
	v_dual_mov_b32 v2, s31 :: v_dual_mov_b32 v3, s30
	s_wait_alu depctr_sa_sdst(0)
	s_lshl2_add_u32 s5, s99, s5
	s_wait_alu depctr_sa_sdst(0)
	s_add_co_i32 s6, s5, -16
	s_wait_alu depctr_sa_sdst(0)
	v_dual_mov_b32 v5, s5 :: v_dual_mov_b32 v4, s6
	ds_store_b32 v4, v2
	ds_store_b32 v5, v3
	s_or_b32 exec_lo, exec_lo, s4
	s_and_saveexec_b32 s4, vcc_lo
	s_cbranch_execz .LBB0_11
.LBB0_48:
	.loc	2 0 36                          ; standard.py:0:36
	s_lshl3_add_u32 s5, s97, 0
	.loc	2 293 36                        ; standard.py:293:36 @[ attention_bwd.py:19:19 ]
	v_dual_mov_b32 v2, s28 :: v_dual_mov_b32 v3, s29
	s_wait_alu depctr_sa_sdst(0)
	s_lshl2_add_u32 s5, s99, s5
	s_wait_alu depctr_sa_sdst(0)
	s_add_co_i32 s6, s5, -16
	s_wait_alu depctr_sa_sdst(0)
	v_dual_mov_b32 v5, s5 :: v_dual_mov_b32 v4, s6
	ds_store_b32 v4, v2
	ds_store_b32 v5, v3
	s_or_b32 exec_lo, exec_lo, s4
	s_and_saveexec_b32 s4, vcc_lo
	s_cbranch_execz .LBB0_12
.LBB0_49:
	.loc	2 0 36                          ; standard.py:0:36
	s_lshl3_add_u32 s5, s96, 0
	.loc	2 293 36                        ; standard.py:293:36 @[ attention_bwd.py:19:19 ]
	v_dual_mov_b32 v2, s26 :: v_dual_mov_b32 v3, s38
	s_wait_alu depctr_sa_sdst(0)
	s_lshl2_add_u32 s5, s99, s5
	s_wait_alu depctr_sa_sdst(0)
	s_add_co_i32 s6, s5, -16
	s_wait_alu depctr_sa_sdst(0)
	v_dual_mov_b32 v5, s5 :: v_dual_mov_b32 v4, s6
	ds_store_b32 v4, v2
	ds_store_b32 v5, v3
	s_or_b32 exec_lo, exec_lo, s4
	s_and_saveexec_b32 s4, vcc_lo
	s_cbranch_execz .LBB0_13
.LBB0_50:
	.loc	2 0 36                          ; standard.py:0:36
	s_lshl3_add_u32 s5, s95, 0
	.loc	2 293 36                        ; standard.py:293:36 @[ attention_bwd.py:19:19 ]
	v_dual_mov_b32 v2, s36 :: v_dual_mov_b32 v3, s37
	s_wait_alu depctr_sa_sdst(0)
	s_lshl2_add_u32 s5, s99, s5
	s_wait_alu depctr_sa_sdst(0)
	s_add_co_i32 s6, s5, -16
	s_wait_alu depctr_sa_sdst(0)
	v_dual_mov_b32 v5, s5 :: v_dual_mov_b32 v4, s6
	ds_store_b32 v4, v2
	ds_store_b32 v5, v3
	s_or_b32 exec_lo, exec_lo, s4
	s_and_saveexec_b32 s4, vcc_lo
	s_cbranch_execz .LBB0_14
.LBB0_51:
	.loc	2 0 36                          ; standard.py:0:36
	s_lshl3_add_u32 s5, s94, 0
	.loc	2 293 36                        ; standard.py:293:36 @[ attention_bwd.py:19:19 ]
	v_dual_mov_b32 v2, s35 :: v_dual_mov_b32 v3, s34
	s_wait_alu depctr_sa_sdst(0)
	s_lshl2_add_u32 s5, s99, s5
	s_wait_alu depctr_sa_sdst(0)
	s_add_co_i32 s6, s5, -16
	s_wait_alu depctr_sa_sdst(0)
	v_dual_mov_b32 v5, s5 :: v_dual_mov_b32 v4, s6
	ds_store_b32 v4, v2
	ds_store_b32 v5, v3
	s_or_b32 exec_lo, exec_lo, s4
	s_and_saveexec_b32 s4, vcc_lo
	s_cbranch_execz .LBB0_15
.LBB0_52:
	.loc	2 0 36                          ; standard.py:0:36
	s_lshl3_add_u32 s5, s93, 0
	.loc	2 293 36                        ; standard.py:293:36 @[ attention_bwd.py:19:19 ]
	s_wait_alu depctr_va_sdst(0)
	v_dual_mov_b32 v2, s50 :: v_dual_mov_b32 v3, s53
	s_wait_alu depctr_sa_sdst(0)
	s_lshl2_add_u32 s5, s99, s5
	s_wait_alu depctr_sa_sdst(0)
	s_add_co_i32 s6, s5, -16
	s_wait_alu depctr_sa_sdst(0)
	v_dual_mov_b32 v5, s5 :: v_dual_mov_b32 v4, s6
	ds_store_b32 v4, v2
	ds_store_b32 v5, v3
	s_or_b32 exec_lo, exec_lo, s4
	s_and_saveexec_b32 s4, vcc_lo
	s_cbranch_execz .LBB0_16
.LBB0_53:
	.loc	2 0 36                          ; standard.py:0:36
	s_lshl3_add_u32 s5, s92, 0
	.loc	2 293 36                        ; standard.py:293:36 @[ attention_bwd.py:19:19 ]
	v_dual_mov_b32 v2, s46 :: v_dual_mov_b32 v3, s41
	s_wait_alu depctr_sa_sdst(0)
	s_lshl2_add_u32 s5, s99, s5
	s_wait_alu depctr_sa_sdst(0)
	s_add_co_i32 s6, s5, -16
	s_wait_alu depctr_sa_sdst(0)
	v_dual_mov_b32 v5, s5 :: v_dual_mov_b32 v4, s6
	ds_store_b32 v4, v2
	ds_store_b32 v5, v3
	s_or_b32 exec_lo, exec_lo, s4
	s_and_saveexec_b32 s4, vcc_lo
	s_cbranch_execz .LBB0_17
.LBB0_54:
	.loc	2 0 36                          ; standard.py:0:36
	s_lshl3_add_u32 s5, s77, 0
	.loc	2 293 36                        ; standard.py:293:36 @[ attention_bwd.py:19:19 ]
	s_wait_alu depctr_va_sdst(0)
	v_dual_mov_b32 v2, s39 :: v_dual_mov_b32 v3, s51
	s_wait_alu depctr_sa_sdst(0)
	s_lshl2_add_u32 s5, s99, s5
	s_wait_alu depctr_sa_sdst(0)
	s_add_co_i32 s6, s5, -16
	s_wait_alu depctr_sa_sdst(0)
	v_dual_mov_b32 v5, s5 :: v_dual_mov_b32 v4, s6
	ds_store_b32 v4, v2
	ds_store_b32 v5, v3
	s_or_b32 exec_lo, exec_lo, s4
	s_and_saveexec_b32 s4, vcc_lo
	s_cbranch_execz .LBB0_18
.LBB0_55:
	.loc	2 0 36                          ; standard.py:0:36
	s_lshl3_add_u32 s5, s9, 0
	.loc	2 293 36                        ; standard.py:293:36 @[ attention_bwd.py:19:19 ]
	v_dual_mov_b32 v2, s56 :: v_dual_mov_b32 v3, s55
	s_wait_alu depctr_sa_sdst(0)
	s_lshl2_add_u32 s5, s99, s5
	s_wait_alu depctr_sa_sdst(0)
	s_add_co_i32 s6, s5, -16
	s_wait_alu depctr_sa_sdst(0)
	v_dual_mov_b32 v5, s5 :: v_dual_mov_b32 v4, s6
	ds_store_b32 v4, v2
	ds_store_b32 v5, v3
	s_or_b32 exec_lo, exec_lo, s4
	s_and_saveexec_b32 s4, vcc_lo
	s_cbranch_execz .LBB0_19
.LBB0_56:
	.loc	2 0 36                          ; standard.py:0:36
	s_lshl3_add_u32 s5, s104, 0
	.loc	2 293 36                        ; standard.py:293:36 @[ attention_bwd.py:19:19 ]
	v_dual_mov_b32 v2, s48 :: v_dual_mov_b32 v3, s47
	s_wait_alu depctr_sa_sdst(0)
	s_lshl2_add_u32 s5, s99, s5
	s_wait_alu depctr_sa_sdst(0)
	s_add_co_i32 s6, s5, -16
	s_wait_alu depctr_sa_sdst(0)
	v_dual_mov_b32 v5, s5 :: v_dual_mov_b32 v4, s6
	ds_store_b32 v4, v2
	ds_store_b32 v5, v3
	s_or_b32 exec_lo, exec_lo, s4
	s_and_saveexec_b32 s4, vcc_lo
	s_cbranch_execz .LBB0_20
.LBB0_57:
	.loc	2 0 36                          ; standard.py:0:36
	v_readlane_b32 s5, v150, 8
	.loc	2 293 36                        ; standard.py:293:36 @[ attention_bwd.py:19:19 ]
	v_dual_mov_b32 v2, s40 :: v_dual_mov_b32 v3, s63
	s_lshl3_add_u32 s5, s5, 0
	s_wait_alu depctr_sa_sdst(0)
	s_lshl2_add_u32 s5, s99, s5
	s_wait_alu depctr_sa_sdst(0)
	s_add_co_i32 s6, s5, -16
	s_wait_alu depctr_sa_sdst(0)
	v_dual_mov_b32 v5, s5 :: v_dual_mov_b32 v4, s6
	ds_store_b32 v4, v2
	ds_store_b32 v5, v3
	s_or_b32 exec_lo, exec_lo, s4
	s_and_saveexec_b32 s4, vcc_lo
	s_cbranch_execz .LBB0_21
.LBB0_58:
	.loc	2 0 36                          ; standard.py:0:36
	v_readlane_b32 s5, v150, 9
	.loc	2 293 36                        ; standard.py:293:36 @[ attention_bwd.py:19:19 ]
	v_dual_mov_b32 v2, s58 :: v_dual_mov_b32 v3, s57
	s_lshl3_add_u32 s5, s5, 0
	s_wait_alu depctr_sa_sdst(0)
	s_lshl2_add_u32 s5, s99, s5
	s_wait_alu depctr_sa_sdst(0)
	s_add_co_i32 s6, s5, -16
	s_wait_alu depctr_sa_sdst(0)
	v_dual_mov_b32 v5, s5 :: v_dual_mov_b32 v4, s6
	ds_store_b32 v4, v2
	ds_store_b32 v5, v3
	s_or_b32 exec_lo, exec_lo, s4
	s_and_saveexec_b32 s4, vcc_lo
	s_cbranch_execz .LBB0_22
.LBB0_59:
	.loc	2 0 36                          ; standard.py:0:36
	v_readlane_b32 s5, v150, 10
	.loc	2 293 36                        ; standard.py:293:36 @[ attention_bwd.py:19:19 ]
	v_dual_mov_b32 v2, s52 :: v_dual_mov_b32 v3, s49
	s_lshl3_add_u32 s5, s5, 0
	s_wait_alu depctr_sa_sdst(0)
	s_lshl2_add_u32 s5, s99, s5
	s_wait_alu depctr_sa_sdst(0)
	s_add_co_i32 s6, s5, -16
	s_wait_alu depctr_sa_sdst(0)
	v_dual_mov_b32 v5, s5 :: v_dual_mov_b32 v4, s6
	ds_store_b32 v4, v2
	ds_store_b32 v5, v3
	s_or_b32 exec_lo, exec_lo, s4
	s_and_saveexec_b32 s4, vcc_lo
	s_cbranch_execz .LBB0_23
.LBB0_60:
	.loc	2 0 36                          ; standard.py:0:36
	v_readlane_b32 s5, v150, 11
	.loc	2 293 36                        ; standard.py:293:36 @[ attention_bwd.py:19:19 ]
	v_dual_mov_b32 v2, s66 :: v_dual_mov_b32 v3, s65
	s_lshl3_add_u32 s5, s5, 0
	s_wait_alu depctr_sa_sdst(0)
	s_lshl2_add_u32 s5, s99, s5
	s_wait_alu depctr_sa_sdst(0)
	s_add_co_i32 s6, s5, -16
	s_wait_alu depctr_sa_sdst(0)
	v_dual_mov_b32 v5, s5 :: v_dual_mov_b32 v4, s6
	ds_store_b32 v4, v2
	ds_store_b32 v5, v3
	s_or_b32 exec_lo, exec_lo, s4
	s_and_saveexec_b32 s4, vcc_lo
	s_cbranch_execz .LBB0_24
.LBB0_61:
	.loc	2 0 36                          ; standard.py:0:36
	v_readlane_b32 s5, v150, 12
	.loc	2 293 36                        ; standard.py:293:36 @[ attention_bwd.py:19:19 ]
	v_dual_mov_b32 v2, s60 :: v_dual_mov_b32 v3, s59
	s_lshl3_add_u32 s5, s5, 0
	s_wait_alu depctr_sa_sdst(0)
	s_lshl2_add_u32 s5, s99, s5
	s_wait_alu depctr_sa_sdst(0)
	s_add_co_i32 s6, s5, -16
	s_wait_alu depctr_sa_sdst(0)
	v_dual_mov_b32 v5, s5 :: v_dual_mov_b32 v4, s6
	ds_store_b32 v4, v2
	ds_store_b32 v5, v3
	s_or_b32 exec_lo, exec_lo, s4
	s_and_saveexec_b32 s4, vcc_lo
	s_cbranch_execz .LBB0_25
.LBB0_62:
	.loc	2 0 36                          ; standard.py:0:36
	s_lshl3_add_u32 s5, s45, 0
	.loc	2 293 36                        ; standard.py:293:36 @[ attention_bwd.py:19:19 ]
	v_dual_mov_b32 v2, s54 :: v_dual_mov_b32 v3, s71
	s_wait_alu depctr_sa_sdst(0)
	s_lshl2_add_u32 s5, s99, s5
	s_wait_alu depctr_sa_sdst(0)
	s_add_co_i32 s6, s5, -16
	s_wait_alu depctr_sa_sdst(0)
	v_dual_mov_b32 v5, s5 :: v_dual_mov_b32 v4, s6
	ds_store_b32 v4, v2
	ds_store_b32 v5, v3
	s_or_b32 exec_lo, exec_lo, s4
	s_and_saveexec_b32 s4, vcc_lo
	s_cbranch_execz .LBB0_26
.LBB0_63:
	.loc	2 0 36                          ; standard.py:0:36
	s_lshl3_add_u32 s5, s44, 0
	.loc	2 293 36                        ; standard.py:293:36 @[ attention_bwd.py:19:19 ]
	v_dual_mov_b32 v2, s68 :: v_dual_mov_b32 v3, s67
	s_wait_alu depctr_sa_sdst(0)
	s_lshl2_add_u32 s5, s99, s5
	s_wait_alu depctr_sa_sdst(0)
	s_add_co_i32 s6, s5, -16
	s_wait_alu depctr_sa_sdst(0)
	v_dual_mov_b32 v5, s5 :: v_dual_mov_b32 v4, s6
	ds_store_b32 v4, v2
	ds_store_b32 v5, v3
	s_or_b32 exec_lo, exec_lo, s4
	s_and_saveexec_b32 s4, vcc_lo
	s_cbranch_execz .LBB0_27
.LBB0_64:
	.loc	2 0 36                          ; standard.py:0:36
	s_lshl3_add_u32 s5, s43, 0
	.loc	2 293 36                        ; standard.py:293:36 @[ attention_bwd.py:19:19 ]
	v_dual_mov_b32 v2, s62 :: v_dual_mov_b32 v3, s61
	s_wait_alu depctr_sa_sdst(0)
	s_lshl2_add_u32 s5, s99, s5
	s_wait_alu depctr_sa_sdst(0)
	s_add_co_i32 s6, s5, -16
	s_wait_alu depctr_sa_sdst(0)
	v_dual_mov_b32 v5, s5 :: v_dual_mov_b32 v4, s6
	ds_store_b32 v4, v2
	ds_store_b32 v5, v3
	s_or_b32 exec_lo, exec_lo, s4
	s_and_saveexec_b32 s4, vcc_lo
	s_cbranch_execz .LBB0_28
.LBB0_65:
	.loc	2 0 36                          ; standard.py:0:36
	s_lshl3_add_u32 s5, s42, 0
	.loc	2 293 36                        ; standard.py:293:36 @[ attention_bwd.py:19:19 ]
	v_dual_mov_b32 v2, s75 :: v_dual_mov_b32 v3, s74
	s_wait_alu depctr_sa_sdst(0)
	s_lshl2_add_u32 s5, s99, s5
	s_wait_alu depctr_sa_sdst(0)
	s_add_co_i32 s6, s5, -16
	s_wait_alu depctr_sa_sdst(0)
	v_dual_mov_b32 v5, s5 :: v_dual_mov_b32 v4, s6
	ds_store_b32 v4, v2
	ds_store_b32 v5, v3
	s_or_b32 exec_lo, exec_lo, s4
	s_and_saveexec_b32 s4, vcc_lo
	s_cbranch_execz .LBB0_29
.LBB0_66:
	.loc	2 0 36                          ; standard.py:0:36
	s_lshl3_add_u32 s5, s13, 0
	.loc	2 293 36                        ; standard.py:293:36 @[ attention_bwd.py:19:19 ]
	v_dual_mov_b32 v2, s70 :: v_dual_mov_b32 v3, s69
	s_wait_alu depctr_sa_sdst(0)
	s_lshl2_add_u32 s5, s99, s5
	s_wait_alu depctr_sa_sdst(0)
	s_add_co_i32 s6, s5, -16
	s_wait_alu depctr_sa_sdst(0)
	v_dual_mov_b32 v5, s5 :: v_dual_mov_b32 v4, s6
	ds_store_b32 v4, v2
	ds_store_b32 v5, v3
	s_or_b32 exec_lo, exec_lo, s4
	s_and_saveexec_b32 s4, vcc_lo
	s_cbranch_execz .LBB0_30
.LBB0_67:
	.loc	2 0 36                          ; standard.py:0:36
	s_lshl3_add_u32 s5, s12, 0
	.loc	2 293 36                        ; standard.py:293:36 @[ attention_bwd.py:19:19 ]
	v_dual_mov_b32 v2, s64 :: v_dual_mov_b32 v3, s102
	s_wait_alu depctr_sa_sdst(0)
	s_lshl2_add_u32 s5, s99, s5
	s_wait_alu depctr_sa_sdst(0)
	s_add_co_i32 s6, s5, -16
	s_wait_alu depctr_sa_sdst(0)
	v_dual_mov_b32 v5, s5 :: v_dual_mov_b32 v4, s6
	ds_store_b32 v4, v2
	ds_store_b32 v5, v3
	s_or_b32 exec_lo, exec_lo, s4
	s_and_saveexec_b32 s4, vcc_lo
	s_cbranch_execz .LBB0_31
.LBB0_68:
	.loc	2 0 36                          ; standard.py:0:36
	s_lshl3_add_u32 s5, s11, 0
	.loc	2 293 36                        ; standard.py:293:36 @[ attention_bwd.py:19:19 ]
	v_dual_mov_b32 v2, s101 :: v_dual_mov_b32 v3, s100
	s_wait_alu depctr_sa_sdst(0)
	s_lshl2_add_u32 s5, s99, s5
	s_wait_alu depctr_sa_sdst(0)
	s_add_co_i32 s6, s5, -16
	s_wait_alu depctr_sa_sdst(0)
	v_dual_mov_b32 v5, s5 :: v_dual_mov_b32 v4, s6
	ds_store_b32 v4, v2
	ds_store_b32 v5, v3
	s_or_b32 exec_lo, exec_lo, s4
	s_and_saveexec_b32 s4, vcc_lo
	s_cbranch_execnz .LBB0_32
	s_branch .LBB0_33
.Ltmp339:
	.section	.rodata,"a",@progbits
	.p2align	6, 0x0
	.amdhsa_kernel _attn_bwd_preprocess
		.amdhsa_group_segment_fixed_size 0
		.amdhsa_private_segment_fixed_size 0
		.amdhsa_kernarg_size 56
		.amdhsa_user_sgpr_count 2
		.amdhsa_user_sgpr_dispatch_ptr 0
		.amdhsa_user_sgpr_queue_ptr 0
		.amdhsa_user_sgpr_kernarg_segment_ptr 1
		.amdhsa_user_sgpr_dispatch_id 0
		.amdhsa_user_sgpr_private_segment_size 0
		.amdhsa_wavefront_size32 1
		.amdhsa_uses_dynamic_stack 0
		.amdhsa_enable_private_segment 0
		.amdhsa_system_sgpr_workgroup_id_x 1
		.amdhsa_system_sgpr_workgroup_id_y 1
		.amdhsa_system_sgpr_workgroup_id_z 1
		.amdhsa_system_sgpr_workgroup_info 0
		.amdhsa_system_vgpr_workitem_id 0
		.amdhsa_next_free_vgpr 151
		.amdhsa_next_free_sgpr 105
		.amdhsa_reserve_vcc 1
		.amdhsa_float_round_mode_32 0
		.amdhsa_float_round_mode_16_64 0
		.amdhsa_float_denorm_mode_32 3
		.amdhsa_float_denorm_mode_16_64 3
		.amdhsa_fp16_overflow 0
		.amdhsa_workgroup_processor_mode 1
		.amdhsa_memory_ordered 1
		.amdhsa_forward_progress 1
		.amdhsa_inst_pref_size 99
		.amdhsa_round_robin_scheduling 0
		.amdhsa_exception_fp_ieee_invalid_op 0
		.amdhsa_exception_fp_denorm_src 0
		.amdhsa_exception_fp_ieee_div_zero 0
		.amdhsa_exception_fp_ieee_overflow 0
		.amdhsa_exception_fp_ieee_underflow 0
		.amdhsa_exception_fp_ieee_inexact 0
		.amdhsa_exception_int_div_zero 0
	.end_amdhsa_kernel
	.text
.Lfunc_end0:
	.size	_attn_bwd_preprocess, .Lfunc_end0-_attn_bwd_preprocess
	.cfi_endproc
                                        ; -- End function
	.set _attn_bwd_preprocess.num_vgpr, 151
	.set _attn_bwd_preprocess.num_agpr, 0
	.set _attn_bwd_preprocess.numbered_sgpr, 105
	.set _attn_bwd_preprocess.num_named_barrier, 0
	.set _attn_bwd_preprocess.private_seg_size, 0
	.set _attn_bwd_preprocess.uses_vcc, 1
	.set _attn_bwd_preprocess.uses_flat_scratch, 0
	.set _attn_bwd_preprocess.has_dyn_sized_stack, 0
	.set _attn_bwd_preprocess.has_recursion, 0
	.set _attn_bwd_preprocess.has_indirect_call, 0
	.section	.AMDGPU.csdata,"",@progbits
; Kernel info:
; codeLenInByte = 12628
; TotalNumSgprs: 107
; NumVgprs: 151
; ScratchSize: 0
; MemoryBound: 0
; FloatMode: 240
; IeeeMode: 1
; LDSByteSize: 0 bytes/workgroup (compile time only)
; SGPRBlocks: 0
; VGPRBlocks: 18
; NumSGPRsForWavesPerEU: 107
; NumVGPRsForWavesPerEU: 151
; Occupancy: 9
; WaveLimiterHint : 0
; COMPUTE_PGM_RSRC2:SCRATCH_EN: 0
; COMPUTE_PGM_RSRC2:USER_SGPR: 2
; COMPUTE_PGM_RSRC2:TRAP_HANDLER: 0
; COMPUTE_PGM_RSRC2:TGID_X_EN: 1
; COMPUTE_PGM_RSRC2:TGID_Y_EN: 1
; COMPUTE_PGM_RSRC2:TGID_Z_EN: 1
; COMPUTE_PGM_RSRC2:TIDIG_COMP_CNT: 0
	.text
	.p2alignl 7, 3214868480
	.fill 96, 4, 3214868480
	.section	.AMDGPU.gpr_maximums,"",@progbits
	.set amdgpu.max_num_vgpr, 0
	.set amdgpu.max_num_agpr, 0
	.set amdgpu.max_num_sgpr, 0
	.set amdgpu.max_num_named_barrier, 0
	.text
	.section	.debug_abbrev,"",@progbits
	.byte	1                               ; Abbreviation Code
	.byte	17                              ; DW_TAG_compile_unit
	.byte	1                               ; DW_CHILDREN_yes
	.byte	37                              ; DW_AT_producer
	.byte	14                              ; DW_FORM_strp
	.byte	19                              ; DW_AT_language
	.byte	5                               ; DW_FORM_data2
	.byte	3                               ; DW_AT_name
	.byte	14                              ; DW_FORM_strp
	.byte	16                              ; DW_AT_stmt_list
	.byte	23                              ; DW_FORM_sec_offset
	.byte	27                              ; DW_AT_comp_dir
	.byte	14                              ; DW_FORM_strp
	.byte	17                              ; DW_AT_low_pc
	.byte	1                               ; DW_FORM_addr
	.byte	18                              ; DW_AT_high_pc
	.byte	6                               ; DW_FORM_data4
	.byte	0                               ; EOM(1)
	.byte	0                               ; EOM(2)
	.byte	2                               ; Abbreviation Code
	.byte	46                              ; DW_TAG_subprogram
	.byte	0                               ; DW_CHILDREN_no
	.byte	3                               ; DW_AT_name
	.byte	14                              ; DW_FORM_strp
	.byte	32                              ; DW_AT_inline
	.byte	11                              ; DW_FORM_data1
	.byte	0                               ; EOM(1)
	.byte	0                               ; EOM(2)
	.byte	3                               ; Abbreviation Code
	.byte	46                              ; DW_TAG_subprogram
	.byte	1                               ; DW_CHILDREN_yes
	.byte	17                              ; DW_AT_low_pc
	.byte	1                               ; DW_FORM_addr
	.byte	18                              ; DW_AT_high_pc
	.byte	6                               ; DW_FORM_data4
	.byte	49                              ; DW_AT_abstract_origin
	.byte	19                              ; DW_FORM_ref4
	.byte	0                               ; EOM(1)
	.byte	0                               ; EOM(2)
	.byte	4                               ; Abbreviation Code
	.byte	29                              ; DW_TAG_inlined_subroutine
	.byte	1                               ; DW_CHILDREN_yes
	.byte	49                              ; DW_AT_abstract_origin
	.byte	19                              ; DW_FORM_ref4
	.byte	85                              ; DW_AT_ranges
	.byte	23                              ; DW_FORM_sec_offset
	.byte	88                              ; DW_AT_call_file
	.byte	11                              ; DW_FORM_data1
	.byte	89                              ; DW_AT_call_line
	.byte	11                              ; DW_FORM_data1
	.byte	87                              ; DW_AT_call_column
	.byte	11                              ; DW_FORM_data1
	.byte	0                               ; EOM(1)
	.byte	0                               ; EOM(2)
	.byte	5                               ; Abbreviation Code
	.byte	29                              ; DW_TAG_inlined_subroutine
	.byte	0                               ; DW_CHILDREN_no
	.byte	49                              ; DW_AT_abstract_origin
	.byte	19                              ; DW_FORM_ref4
	.byte	85                              ; DW_AT_ranges
	.byte	23                              ; DW_FORM_sec_offset
	.byte	88                              ; DW_AT_call_file
	.byte	11                              ; DW_FORM_data1
	.byte	89                              ; DW_AT_call_line
	.byte	5                               ; DW_FORM_data2
	.byte	87                              ; DW_AT_call_column
	.byte	11                              ; DW_FORM_data1
	.byte	0                               ; EOM(1)
	.byte	0                               ; EOM(2)
	;; [unrolled: 1-line block ×3, first 2 shown]
	.section	.debug_info,"",@progbits
.Lcu_begin0:
	.long	.Ldebug_info_end0-.Ldebug_info_start0 ; Length of Unit
.Ldebug_info_start0:
	.short	4                               ; DWARF version number
	.long	.debug_abbrev                   ; Offset Into Abbrev. Section
	.byte	8                               ; Address Size (in bytes)
	.byte	1                               ; Abbrev [1] 0xb:0x52 DW_TAG_compile_unit
	.long	.Linfo_string0                  ; DW_AT_producer
	.short	2                               ; DW_AT_language
	.long	.Linfo_string1                  ; DW_AT_name
	.long	.Lline_table_start0             ; DW_AT_stmt_list
	.long	.Linfo_string2                  ; DW_AT_comp_dir
	.quad	.Lfunc_begin0                   ; DW_AT_low_pc
	.long	.Lfunc_end0-.Lfunc_begin0       ; DW_AT_high_pc
	.byte	2                               ; Abbrev [2] 0x2a:0x6 DW_TAG_subprogram
	.long	.Linfo_string3                  ; DW_AT_name
	.byte	1                               ; DW_AT_inline
	.byte	3                               ; Abbrev [3] 0x30:0x2c DW_TAG_subprogram
	.quad	.Lfunc_begin0                   ; DW_AT_low_pc
	.long	.Lfunc_end0-.Lfunc_begin0       ; DW_AT_high_pc
	.long	42                              ; DW_AT_abstract_origin
	.byte	4                               ; Abbrev [4] 0x41:0x1a DW_TAG_inlined_subroutine
	.long	42                              ; DW_AT_abstract_origin
	.long	.Ldebug_ranges0                 ; DW_AT_ranges
	.byte	1                               ; DW_AT_call_file
	.byte	19                              ; DW_AT_call_line
	.byte	19                              ; DW_AT_call_column
	.byte	5                               ; Abbrev [5] 0x4d:0xd DW_TAG_inlined_subroutine
	.long	42                              ; DW_AT_abstract_origin
	.long	.Ldebug_ranges1                 ; DW_AT_ranges
	.byte	2                               ; DW_AT_call_file
	.short	293                             ; DW_AT_call_line
	.byte	36                              ; DW_AT_call_column
	.byte	0                               ; End Of Children Mark
	.byte	0                               ; End Of Children Mark
	;; [unrolled: 1-line block ×3, first 2 shown]
.Ldebug_info_end0:
	.section	.debug_ranges,"",@progbits
.Ldebug_ranges0:
	.quad	.Ltmp0-.Lfunc_begin0
	.quad	.Ltmp2-.Lfunc_begin0
	;; [unrolled: 1-line block ×130, first 2 shown]
	.quad	0
	.quad	0
.Ldebug_ranges1:
	.quad	.Ltmp1-.Lfunc_begin0
	.quad	.Ltmp2-.Lfunc_begin0
	;; [unrolled: 1-line block ×276, first 2 shown]
	.quad	0
	.quad	0
	.section	.debug_str,"MS",@progbits,1
.Linfo_string0:
	.asciz	"triton"                        ; string offset=0
.Linfo_string1:
	.asciz	"attention_bwd.py"              ; string offset=7
.Linfo_string2:
	.asciz	"/root/src/amdgpu-assembly/repos/triton-lang__triton-aot" ; string offset=24
.Linfo_string3:
	.asciz	"_attn_bwd_preprocess"          ; string offset=80
	.section	".note.GNU-stack","",@progbits
	.amdgpu_metadata
---
amdhsa.kernels:
  - .args:
      - .address_space:  global
        .offset:         0
        .size:           8
        .value_kind:     global_buffer
      - .address_space:  global
        .offset:         8
        .size:           8
        .value_kind:     global_buffer
      - .address_space:  global
        .offset:         16
        .size:           8
        .value_kind:     global_buffer
      - .offset:         24
        .size:           4
        .value_kind:     by_value
      - .offset:         28
        .size:           4
        .value_kind:     by_value
      - .offset:         32
        .size:           4
        .value_kind:     by_value
      - .address_space:  global
        .offset:         40
        .size:           8
        .value_kind:     global_buffer
      - .address_space:  global
        .offset:         48
        .size:           8
        .value_kind:     global_buffer
    .group_segment_fixed_size: 0
    .kernarg_segment_align: 8
    .kernarg_segment_size: 56
    .max_flat_workgroup_size: 128
    .name:           _attn_bwd_preprocess
    .private_segment_fixed_size: 0
    .sgpr_count:     107
    .sgpr_spill_count: 13
    .symbol:         _attn_bwd_preprocess.kd
    .uniform_work_group_size: 1
    .uses_dynamic_stack: false
    .vgpr_count:     151
    .vgpr_spill_count: 0
    .wavefront_size: 32
    .workgroup_processor_mode: 1
amdhsa.target:   amdgcn-amd-amdhsa--gfx1201
amdhsa.version:
  - 1
  - 2
...

	.end_amdgpu_metadata
	.section	.debug_line,"",@progbits
.Lline_table_start0:
